;; amdgpu-corpus repo=ROCm/Tensile kind=harvested arch=n/a opt=n/a

/******************************************/
/* Function Prefix                        */
/******************************************/



/******************************************/
/* Begin Kernel                           */
/******************************************/

// Component.Signature.SignatureDefault
.amdgcn_target "amdgcn-amd-amdhsa--gfx908"
.text
.protected Cijk_Alik_Bljk_BBS_BH_MT128x128x32_MI32x32x4x1_SE_1LDSB0_APM1_AF0EM1_AF1EM1_AMAS3_ASE_ASAE01_ASCE01_ASEM1_BL1_DTLA0_DTLB0_DVO0_EPS1_FL0_GLVWA8_GLVWB8_GRVW8_GSU1_GSUASB_ISA908_IU1_K1_KLA_LBSPPA128_LBSPPB128_LPA8_LPB8_LDL1_LRVW2_LDW0_MAC_MDA2_MMFGLC_NTC0_NTD0_NEPBS0_NLCA1_NLCB1_ONLL1_OPLV0_PK0_PAP0_PGR1_PLR1_SIA3_SS0_SU32_SUM0_SUS256_SPO0_SRVW0_SSO0_SVW4_SNLL0_TT2_64_TLDS1_UMLDSA1_UMLDSB1_USFGROn1_VAW1_VSn1_VW2_VWB2_WSGRA0_WSGRB0_WG64_4_1_WGM4
.globl Cijk_Alik_Bljk_BBS_BH_MT128x128x32_MI32x32x4x1_SE_1LDSB0_APM1_AF0EM1_AF1EM1_AMAS3_ASE_ASAE01_ASCE01_ASEM1_BL1_DTLA0_DTLB0_DVO0_EPS1_FL0_GLVWA8_GLVWB8_GRVW8_GSU1_GSUASB_ISA908_IU1_K1_KLA_LBSPPA128_LBSPPB128_LPA8_LPB8_LDL1_LRVW2_LDW0_MAC_MDA2_MMFGLC_NTC0_NTD0_NEPBS0_NLCA1_NLCB1_ONLL1_OPLV0_PK0_PAP0_PGR1_PLR1_SIA3_SS0_SU32_SUM0_SUS256_SPO0_SRVW0_SSO0_SVW4_SNLL0_TT2_64_TLDS1_UMLDSA1_UMLDSB1_USFGROn1_VAW1_VSn1_VW2_VWB2_WSGRA0_WSGRB0_WG64_4_1_WGM4
.p2align 8
.type Cijk_Alik_Bljk_BBS_BH_MT128x128x32_MI32x32x4x1_SE_1LDSB0_APM1_AF0EM1_AF1EM1_AMAS3_ASE_ASAE01_ASCE01_ASEM1_BL1_DTLA0_DTLB0_DVO0_EPS1_FL0_GLVWA8_GLVWB8_GRVW8_GSU1_GSUASB_ISA908_IU1_K1_KLA_LBSPPA128_LBSPPB128_LPA8_LPB8_LDL1_LRVW2_LDW0_MAC_MDA2_MMFGLC_NTC0_NTD0_NEPBS0_NLCA1_NLCB1_ONLL1_OPLV0_PK0_PAP0_PGR1_PLR1_SIA3_SS0_SU32_SUM0_SUS256_SPO0_SRVW0_SSO0_SVW4_SNLL0_TT2_64_TLDS1_UMLDSA1_UMLDSB1_USFGROn1_VAW1_VSn1_VW2_VWB2_WSGRA0_WSGRB0_WG64_4_1_WGM4,@function
.section .rodata,#alloc
.p2align 6
.amdhsa_kernel Cijk_Alik_Bljk_BBS_BH_MT128x128x32_MI32x32x4x1_SE_1LDSB0_APM1_AF0EM1_AF1EM1_AMAS3_ASE_ASAE01_ASCE01_ASEM1_BL1_DTLA0_DTLB0_DVO0_EPS1_FL0_GLVWA8_GLVWB8_GRVW8_GSU1_GSUASB_ISA908_IU1_K1_KLA_LBSPPA128_LBSPPB128_LPA8_LPB8_LDL1_LRVW2_LDW0_MAC_MDA2_MMFGLC_NTC0_NTD0_NEPBS0_NLCA1_NLCB1_ONLL1_OPLV0_PK0_PAP0_PGR1_PLR1_SIA3_SS0_SU32_SUM0_SUS256_SPO0_SRVW0_SSO0_SVW4_SNLL0_TT2_64_TLDS1_UMLDSA1_UMLDSB1_USFGROn1_VAW1_VSn1_VW2_VWB2_WSGRA0_WSGRB0_WG64_4_1_WGM4
  .amdhsa_user_sgpr_kernarg_segment_ptr 1
  .amdhsa_user_sgpr_count 2
  .amdhsa_next_free_vgpr 256 // vgprs
  .amdhsa_next_free_sgpr 65 // sgprs
  .amdhsa_group_segment_fixed_size 51200 // lds bytes
  .amdhsa_private_segment_fixed_size 0
  .amdhsa_system_sgpr_workgroup_id_x 1
  .amdhsa_system_sgpr_workgroup_id_y 1
  .amdhsa_system_sgpr_workgroup_id_z 1
  .amdhsa_system_vgpr_workitem_id 0
  .amdhsa_float_denorm_mode_32 3
  .amdhsa_float_denorm_mode_16_64 3
.end_amdhsa_kernel
.text

/******************************************/
/* Optimizations and Config:              */
/******************************************/
/* ThreadTile= 32 x 2 */
/* SubGroup= 4 x 64 */
/* VectorWidthA=2 */
/* VectorWidthB=2 */
/* GlobalLoadVectorWidthA=8, GlobalLoadVectorWidthB=8 */
/* DirectToLdsA=False */
/* DirectToLdsB=False */
/* UseSgprForGRO=1 */
.amdgpu_metadata
---
amdhsa.version:
  - 1
  - 1
amdhsa.target: amdgcn-amd-amdhsa--gfx908
amdhsa.kernels:
  - .name: Cijk_Alik_Bljk_BBS_BH_MT128x128x32_MI32x32x4x1_SE_1LDSB0_APM1_AF0EM1_AF1EM1_AMAS3_ASE_ASAE01_ASCE01_ASEM1_BL1_DTLA0_DTLB0_DVO0_EPS1_FL0_GLVWA8_GLVWB8_GRVW8_GSU1_GSUASB_ISA908_IU1_K1_KLA_LBSPPA128_LBSPPB128_LPA8_LPB8_LDL1_LRVW2_LDW0_MAC_MDA2_MMFGLC_NTC0_NTD0_NEPBS0_NLCA1_NLCB1_ONLL1_OPLV0_PK0_PAP0_PGR1_PLR1_SIA3_SS0_SU32_SUM0_SUS256_SPO0_SRVW0_SSO0_SVW4_SNLL0_TT2_64_TLDS1_UMLDSA1_UMLDSB1_USFGROn1_VAW1_VSn1_VW2_VWB2_WSGRA0_WSGRB0_WG64_4_1_WGM4
    .symbol: 'Cijk_Alik_Bljk_BBS_BH_MT128x128x32_MI32x32x4x1_SE_1LDSB0_APM1_AF0EM1_AF1EM1_AMAS3_ASE_ASAE01_ASCE01_ASEM1_BL1_DTLA0_DTLB0_DVO0_EPS1_FL0_GLVWA8_GLVWB8_GRVW8_GSU1_GSUASB_ISA908_IU1_K1_KLA_LBSPPA128_LBSPPB128_LPA8_LPB8_LDL1_LRVW2_LDW0_MAC_MDA2_MMFGLC_NTC0_NTD0_NEPBS0_NLCA1_NLCB1_ONLL1_OPLV0_PK0_PAP0_PGR1_PLR1_SIA3_SS0_SU32_SUM0_SUS256_SPO0_SRVW0_SSO0_SVW4_SNLL0_TT2_64_TLDS1_UMLDSA1_UMLDSB1_USFGROn1_VAW1_VSn1_VW2_VWB2_WSGRA0_WSGRB0_WG64_4_1_WGM4.kd'
    .language:                   OpenCL C
    .language_version:
      - 2
      - 0
    .args:
      - .name:            Tensor2dSizeA
        .size:            8
        .offset:          0
        .value_kind:      by_value
        .value_type:      u64
      - .name:            Tensor2dSizeB
        .size:            8
        .offset:          8
        .value_kind:      by_value
        .value_type:      u64
      - .name:            AddressD
        .size:            8
        .offset:          16
        .value_kind:      by_value
        .value_type:      u64
      - .name:            AddressC
        .size:            8
        .offset:          24
        .value_kind:      by_value
        .value_type:      u64
      - .name:            AddressA
        .size:            8
        .offset:          32
        .value_kind:      by_value
        .value_type:      u64
      - .name:            AddressB
        .size:            8
        .offset:          40
        .value_kind:      by_value
        .value_type:      u64
      - .name:            Alpha
        .size:            4
        .offset:          48
        .value_kind:      by_value
        .value_type:      u32
      - .name:            Beta
        .size:            4
        .offset:          52
        .value_kind:      by_value
        .value_type:      u32
      - .name:            StridesD
        .size:            8
        .offset:          56
        .value_kind:      by_value
        .value_type:      u64
      - .name:            StridesC
        .size:            8
        .offset:          64
        .value_kind:      by_value
        .value_type:      u64
      - .name:            StridesA
        .size:            8
        .offset:          72
        .value_kind:      by_value
        .value_type:      u64
      - .name:            StridesB
        .size:            8
        .offset:          80
        .value_kind:      by_value
        .value_type:      u64
      - .name:            SizesFree
        .size:            12
        .offset:          88
        .value_kind:      by_value
        .value_type:      u96
      - .name:            SizesSum
        .size:            4
        .offset:          100
        .value_kind:      by_value
        .value_type:      u32
      - .name:            OrigStaggerUIter
        .size:            4
        .offset:          104
        .value_kind:      by_value
        .value_type:      u32
      - .name:            NumWorkGroups0
        .size:            4
        .offset:          108
        .value_kind:      by_value
        .value_type:      u32
      - .name:            NumWorkGroups1
        .size:            4
        .offset:          112
        .value_kind:      by_value
        .value_type:      u32
      - .name:            NumFullBlocks
        .size:            4
        .offset:          116
        .value_kind:      by_value
        .value_type:      u32
      - .name:            WgmRemainder1
        .size:            4
        .offset:          120
        .value_kind:      by_value
        .value_type:      u32
      - .name:            MagicNumberWgmRemainder1
        .size:            4
        .offset:          124
        .value_kind:      by_value
        .value_type:      u32
    .group_segment_fixed_size:   51200
    .kernarg_segment_align:      8
    .kernarg_segment_size:       128
    .max_flat_workgroup_size:    256
    .private_segment_fixed_size: 0
    .sgpr_count:                 65
    .sgpr_spill_count:           0
    .vgpr_count:                 256
    .vgpr_spill_count:           0
    .wavefront_size:             64
...
.end_amdgpu_metadata
Cijk_Alik_Bljk_BBS_BH_MT128x128x32_MI32x32x4x1_SE_1LDSB0_APM1_AF0EM1_AF1EM1_AMAS3_ASE_ASAE01_ASCE01_ASEM1_BL1_DTLA0_DTLB0_DVO0_EPS1_FL0_GLVWA8_GLVWB8_GRVW8_GSU1_GSUASB_ISA908_IU1_K1_KLA_LBSPPA128_LBSPPB128_LPA8_LPB8_LDL1_LRVW2_LDW0_MAC_MDA2_MMFGLC_NTC0_NTD0_NEPBS0_NLCA1_NLCB1_ONLL1_OPLV0_PK0_PAP0_PGR1_PLR1_SIA3_SS0_SU32_SUM0_SUS256_SPO0_SRVW0_SSO0_SVW4_SNLL0_TT2_64_TLDS1_UMLDSA1_UMLDSB1_USFGROn1_VAW1_VSn1_VW2_VWB2_WSGRA0_WSGRB0_WG64_4_1_WGM4:

/******************************************/
/* Asm syntax workarounds                 */
/******************************************/
.macro _v_add_co_u32 dst:req, cc:req, src0:req, src1:req, dpp=
   v_add_co_u32 \dst, \cc, \src0, \src1 \dpp
.endm

.macro _v_add_u32 dst:req, src0:req, src1:req, dpp=
   v_add_u32 \dst, \src0, \src1 \dpp
.endm

.macro _v_add_i32 dst:req, src0:req, src1:req, dpp=
   v_add_i32 \dst, \src0, \src1 \dpp
.endm

.macro _v_addc_co_u32 dst:req, ccOut:req, src0:req, ccIn:req, src1:req, dpp=
   v_addc_co_u32 \dst, \ccOut, \src0, \ccIn, \src1 \dpp
.endm

.macro _v_sub_co_u32 dst:req, cc:req, src0:req, src1:req, dpp=
   v_sub_co_u32 \dst, \cc, \src0, \src1 \dpp
.endm

.macro _v_sub_u32 dst:req, src0:req, src1:req, dpp=
   v_sub_u32 \dst, \src0, \src1 \dpp
.endm

.macro _v_sub_i32 dst:req, src0:req, src1:req, dpp=
   v_sub_i32 \dst, \src0, \src1 \dpp
.endm

.macro _v_add_lshl_u32 dst:req, src0:req, src1:req, shiftCnt:req
    v_add_lshl_u32 \dst, \src0, \src1, \shiftCnt
.endm

.macro _v_lshl_add_u32 dst:req, src0:req, src1:req, shiftCnt:req
    v_lshl_add_u32 \dst, \src0, \src1, \shiftCnt
.endm

.macro _v_lshl_or_b32 dst:req, src0:req, shiftCnt:req, src1:req
    v_lshl_or_b32 \dst, \src0, \shiftCnt, \src1
.endm

.macro _v_dot2acc_f32_f16 dst, src0, src1
v_dot2c_f32_f16 \dst, \src0, \src1
.endm

.macro _v_cmpx_lt_i16 dst, src0, src1=
   v_cmpx_lt_i16 \dst, \src0, \src1 
.endm

.macro _v_cmpx_lt_i32 dst, src0, src1=
   v_cmpx_lt_i32 \dst, \src0, \src1 
.endm

.macro _v_cmpx_lt_i64 dst, src0, src1=
   v_cmpx_lt_i64 \dst, \src0, \src1 
.endm

.macro _v_cmpx_lt_u16 dst, src0, src1=
   v_cmpx_lt_u16 \dst, \src0, \src1 
.endm

.macro _v_cmpx_lt_u32 dst, src0, src1=
   v_cmpx_lt_u32 \dst, \src0, \src1 
.endm

.macro _v_cmpx_lt_u64 dst, src0, src1=
   v_cmpx_lt_u64 \dst, \src0, \src1 
.endm

.macro _v_cmpx_eq_i16 dst, src0, src1=
   v_cmpx_eq_i16 \dst, \src0, \src1 
.endm

.macro _v_cmpx_eq_i32 dst, src0, src1=
   v_cmpx_eq_i32 \dst, \src0, \src1 
.endm

.macro _v_cmpx_eq_i64 dst, src0, src1=
   v_cmpx_eq_i64 \dst, \src0, \src1 
.endm

.macro _v_cmpx_eq_u16 dst, src0, src1=
   v_cmpx_eq_u16 \dst, \src0, \src1 
.endm

.macro _v_cmpx_eq_u32 dst, src0, src1=
   v_cmpx_eq_u32 \dst, \src0, \src1 
.endm

.macro _v_cmpx_eq_u64 dst, src0, src1=
   v_cmpx_eq_u64 \dst, \src0, \src1 
.endm

.macro _v_cmpx_le_i16 dst, src0, src1=
   v_cmpx_le_i16 \dst, \src0, \src1 
.endm

.macro _v_cmpx_le_i32 dst, src0, src1=
   v_cmpx_le_i32 \dst, \src0, \src1 
.endm

.macro _v_cmpx_le_i64 dst, src0, src1=
   v_cmpx_le_i64 \dst, \src0, \src1 
.endm

.macro _v_cmpx_le_u16 dst, src0, src1=
   v_cmpx_le_u16 \dst, \src0, \src1 
.endm

.macro _v_cmpx_le_u32 dst, src0, src1=
   v_cmpx_le_u32 \dst, \src0, \src1 
.endm

.macro _v_cmpx_le_u64 dst, src0, src1=
   v_cmpx_le_u64 \dst, \src0, \src1 
.endm

.macro _v_cmpx_gt_i16 dst, src0, src1=
   v_cmpx_gt_i16 \dst, \src0, \src1 
.endm

.macro _v_cmpx_gt_i32 dst, src0, src1=
   v_cmpx_gt_i32 \dst, \src0, \src1 
.endm

.macro _v_cmpx_gt_i64 dst, src0, src1=
   v_cmpx_gt_i64 \dst, \src0, \src1 
.endm

.macro _v_cmpx_gt_u16 dst, src0, src1=
   v_cmpx_gt_u16 \dst, \src0, \src1 
.endm

.macro _v_cmpx_gt_u32 dst, src0, src1=
   v_cmpx_gt_u32 \dst, \src0, \src1 
.endm

.macro _v_cmpx_gt_u64 dst, src0, src1=
   v_cmpx_gt_u64 \dst, \src0, \src1 
.endm

.macro _v_cmpx_ne_i16 dst, src0, src1=
   v_cmpx_ne_i16 \dst, \src0, \src1 
.endm

.macro _v_cmpx_ne_i32 dst, src0, src1=
   v_cmpx_ne_i32 \dst, \src0, \src1 
.endm

.macro _v_cmpx_ne_i64 dst, src0, src1=
   v_cmpx_ne_i64 \dst, \src0, \src1 
.endm

.macro _v_cmpx_ne_u16 dst, src0, src1=
   v_cmpx_ne_u16 \dst, \src0, \src1 
.endm

.macro _v_cmpx_ne_u32 dst, src0, src1=
   v_cmpx_ne_u32 \dst, \src0, \src1 
.endm

.macro _v_cmpx_ne_u64 dst, src0, src1=
   v_cmpx_ne_u64 \dst, \src0, \src1 
.endm

.macro _v_cmpx_lg_i16 dst, src0, src1=
   v_cmpx_lg_i16 \dst, \src0, \src1 
.endm

.macro _v_cmpx_lg_i32 dst, src0, src1=
   v_cmpx_lg_i32 \dst, \src0, \src1 
.endm

.macro _v_cmpx_lg_i64 dst, src0, src1=
   v_cmpx_lg_i64 \dst, \src0, \src1 
.endm

.macro _v_cmpx_lg_u16 dst, src0, src1=
   v_cmpx_lg_u16 \dst, \src0, \src1 
.endm

.macro _v_cmpx_lg_u32 dst, src0, src1=
   v_cmpx_lg_u32 \dst, \src0, \src1 
.endm

.macro _v_cmpx_lg_u64 dst, src0, src1=
   v_cmpx_lg_u64 \dst, \src0, \src1 
.endm

.macro _v_cmpx_ge_i16 dst, src0, src1=
   v_cmpx_ge_i16 \dst, \src0, \src1 
.endm

.macro _v_cmpx_ge_i32 dst, src0, src1=
   v_cmpx_ge_i32 \dst, \src0, \src1 
.endm

.macro _v_cmpx_ge_i64 dst, src0, src1=
   v_cmpx_ge_i64 \dst, \src0, \src1 
.endm

.macro _v_cmpx_ge_u16 dst, src0, src1=
   v_cmpx_ge_u16 \dst, \src0, \src1 
.endm

.macro _v_cmpx_ge_u32 dst, src0, src1=
   v_cmpx_ge_u32 \dst, \src0, \src1 
.endm

.macro _v_cmpx_ge_u64 dst, src0, src1=
   v_cmpx_ge_u64 \dst, \src0, \src1 
.endm

.macro _v_cmpx_o_i16 dst, src0, src1=
   v_cmpx_o_i16 \dst, \src0, \src1 
.endm

.macro _v_cmpx_o_i32 dst, src0, src1=
   v_cmpx_o_i32 \dst, \src0, \src1 
.endm

.macro _v_cmpx_o_i64 dst, src0, src1=
   v_cmpx_o_i64 \dst, \src0, \src1 
.endm

.macro _v_cmpx_o_u16 dst, src0, src1=
   v_cmpx_o_u16 \dst, \src0, \src1 
.endm

.macro _v_cmpx_o_u32 dst, src0, src1=
   v_cmpx_o_u32 \dst, \src0, \src1 
.endm

.macro _v_cmpx_o_u64 dst, src0, src1=
   v_cmpx_o_u64 \dst, \src0, \src1 
.endm

.macro _v_cmpx_u_i16 dst, src0, src1=
   v_cmpx_u_i16 \dst, \src0, \src1 
.endm

.macro _v_cmpx_u_i32 dst, src0, src1=
   v_cmpx_u_i32 \dst, \src0, \src1 
.endm

.macro _v_cmpx_u_i64 dst, src0, src1=
   v_cmpx_u_i64 \dst, \src0, \src1 
.endm

.macro _v_cmpx_u_u16 dst, src0, src1=
   v_cmpx_u_u16 \dst, \src0, \src1 
.endm

.macro _v_cmpx_u_u32 dst, src0, src1=
   v_cmpx_u_u32 \dst, \src0, \src1 
.endm

.macro _v_cmpx_u_u64 dst, src0, src1=
   v_cmpx_u_u64 \dst, \src0, \src1 
.endm
.macro _v_mac_f32 c:req, a:req, b:req
    v_mac_f32 \c, \a, \b
.endmacro

/* scale global load macros */
.macro _s_load_b32 dst base offset
    s_load_dword \dst \base \offset
.endm

.macro _s_load_b64 dst base offset
    s_load_dwordx2 \dst \base \offset
.endm

.macro _s_load_b128 dst base offset
    s_load_dwordx4 \dst \base \offset
.endm

.macro _s_load_b256 dst base offset
    s_load_dwordx8 \dst \base \offset
.endm

.macro _s_load_b512 dst base offset
    s_load_dwordx16 \dst \base \offset
.endm


/* ds operation macros */
.macro _ds_load_u8 dst src offset
    ds_read_u8 \dst \src \offset
.endm

.macro _ds_load_u8_d16_hi dst src offset
    ds_read_u8_d16_hi \dst \src \offset
.endm

.macro _ds_load_u16 dst src offset
    ds_read_u16 \dst \src \offset
.endm

.macro _ds_load_u16_d16_hi dst src offset
    ds_read_u16_d16_hi \dst \src \offset
.endm

.macro _ds_load_b32 dst src offset
    ds_read_b32 \dst \src \offset
.endm

.macro _ds_load_b64 dst src offset
    ds_read_b64 \dst \src \offset
.endm

.macro _ds_load_b128 dst src offset
    ds_read_b128 \dst \src \offset
.endm

.macro _ds_store_b8 dst src offset
    ds_write_b8 \dst \src \offset
.endm

.macro _ds_store_b8_d16_hi dst src offset
    ds_write_b8_d16_hi \dst \src \offset
.endm

.macro _ds_store_b16 dst src offset
    ds_write_b16 \dst \src \offset
.endm

.macro _ds_store_b16_d16_hi dst src offset
    ds_write_b16_d16_hi \dst \src \offset
.endm

.macro _ds_store_b32 dst src offset
    ds_write_b32 \dst \src \offset
.endm

.macro _ds_store_b64 dst src offset
    ds_write_b64 \dst \src \offset
.endm

.macro _ds_store_b128 dst src offset
    ds_write_b128 \dst \src \offset
.endm

.macro _ds_load2_b32 dst src offset1 offset2
    ds_read2_b32 \dst \src \offset1 \offset2
.endm

.macro _ds_load2_b64 dst src offset1 offset2
    ds_read2_b64 \dst \src \offset1 \offset2
.endm

.macro _ds_store2_b32 dst src offset1 offset2
    ds_write2_b32 \dst \src \offset1 \offset2
.endm

.macro _ds_store2_b64 dst src offset1 offset2
    ds_write2_b64 \dst \src \offset1 \offset2
.endm


/* buffer memory operation macros */
.macro _buffer_load_b32 dst voffset base soffset offen ioffset md0 md1 md2
    buffer_load_dword \dst \voffset \base \soffset \offen \ioffset \md0 \md1 \md2
.endm

.macro _buffer_load_b64 dst voffset base soffset offen ioffset md0 md1 md2
    buffer_load_dwordx2 \dst \voffset \base \soffset \offen \ioffset \md0 \md1 \md2
.endm

.macro _buffer_load_b96 dst voffset base soffset offen ioffset md0 md1 md2
    buffer_load_dwordx3 \dst \voffset \base \soffset \offen \ioffset \md0 \md1 \md2
.endm

.macro _buffer_load_b128 dst voffset base soffset offen ioffset md0 md1 md2
    buffer_load_dwordx4 \dst \voffset \base \soffset \offen \ioffset \md0 \md1 \md2
.endm

.macro _buffer_load_d16_b16 dst voffset base soffset offen ioffset md0 md1 md2
    buffer_load_short_d16 \dst \voffset \base \soffset \offen \ioffset \md0 \md1 \md2
.endm

.macro _buffer_load_d16_hi_b16 dst voffset base soffset offen ioffset md0 md1 md2
    buffer_load_short_d16_hi \dst \voffset \base \soffset \offen \ioffset \md0 \md1 \md2
.endm

.macro _buffer_load_d16_u8 dst voffset base soffset offen ioffset md0 md1 md2
    buffer_load_ubyte_d16 \dst \voffset \base \soffset \offen \ioffset \md0 \md1 \md2
.endm

.macro _buffer_load_d16_hi_u8 dst voffset base soffset offen ioffset md0 md1 md2
    buffer_load_ubyte_d16_hi \dst \voffset \base \soffset \offen \ioffset \md0 \md1 \md2
.endm

.macro _buffer_load_u16 dst voffset base soffset offen ioffset md0 md1 md2
    buffer_load_ushort \dst \voffset \base \soffset \offen \ioffset \md0 \md1 \md2
.endm

.macro _buffer_load_b32_dtl voffset base soffset offen ioffset md0 md1 md2
    buffer_load_dword \voffset \base \soffset \offen \ioffset \md0 \md1 \md2
.endm

.macro _buffer_load_b64_dtl voffset base soffset offen ioffset md0 md1 md2
    buffer_load_dwordx2 \voffset \base \soffset \offen \ioffset \md0 \md1 \md2
.endm

.macro _buffer_load_b128_dtl voffset base soffset offen ioffset md0 md1 md2
    buffer_load_dwordx4 \voffset \base \soffset \offen \ioffset \md0 \md1 \md2
.endm

.macro _buffer_load_u16_dtl voffset base soffset offen ioffset md0 md1 md2
    buffer_load_ushort \voffset \base \soffset \offen \ioffset \md0 \md1 \md2
.endm

.macro _buffer_store_b32 src voffset base soffset offen ioffset md0 md1 md2
    buffer_store_dword \src \voffset \base \soffset \offen \ioffset \md0 \md1 \md2
.endm

.macro _buffer_store_b64 src voffset base soffset offen ioffset md0 md1 md2
    buffer_store_dwordx2 \src \voffset \base \soffset \offen \ioffset \md0 \md1 \md2
.endm

.macro _buffer_store_b96 src voffset base soffset offen ioffset md0 md1 md2
    buffer_store_dwordx3 \src \voffset \base \soffset \offen \ioffset \md0 \md1 \md2
.endm

.macro _buffer_store_b128 src voffset base soffset offen ioffset md0 md1 md2
    buffer_store_dwordx4 \src \voffset \base \soffset \offen \ioffset \md0 \md1 \md2
.endm

.macro _buffer_store_b16 src voffset base soffset offen ioffset md0 md1 md2
    buffer_store_short \src \voffset \base \soffset \offen \ioffset \md0 \md1 \md2
.endm

.macro _buffer_store_d16_hi_b16 src voffset base soffset offen ioffset md0 md1 md2
    buffer_store_short_d16_hi \src \voffset \base \soffset \offen \ioffset \md0 \md1 \md2
.endm

.macro _buffer_store_b8 src voffset base soffset offen ioffset md0 md1 md2
    buffer_store_byte \src \voffset \base \soffset \offen \ioffset \md0 \md1 \md2
.endm

.macro _buffer_store_d16_hi_b8 src voffset base soffset offen ioffset md0 md1 md2
    buffer_store_byte_d16_hi \src \voffset \base \soffset \offen \ioffset \md0 \md1 \md2
.endm

.macro _buffer_atomic_cmpswap_b32 dst voffset base soffset offen ioffset md0 md1 md2
    buffer_atomic_cmpswap \dst \voffset \base \soffset \offen \ioffset \md0 \md1 \md2
.endm

.macro _buffer_atomic_cmpswap_b64 dst voffset base soffset offen ioffset md0 md1 md2
    buffer_atomic_cmpswap_x2 \dst \voffset \base \soffset \offen \ioffset \md0 \md1 \md2
.endm


/* buffer memory operation macros */
.macro _global_load_b32 dst base src ioffset md0 md1 md2
    global_load_dword \dst \base \src \ioffset \md0 \md1 \md2
.endm

.macro _global_load_b64 dst base src ioffset md0 md1 md2
    global_load_dwordx2 \dst \base \src \ioffset \md0 \md1 \md2
.endm

.macro _global_load_b96 dst base src ioffset md0 md1 md2
    global_load_dwordx3 \dst \base \src \ioffset \md0 \md1 \md2
.endm

.macro _global_load_b128 dst base src ioffset md0 md1 md2
    global_load_dwordx4 \dst \base \src \ioffset \md0 \md1 \md2
.endm

.macro _global_load_d16_b16 dst base src ioffset md0 md1 md2
    global_load_short_d16 \dst \base \src \ioffset \md0 \md1 \md2
.endm

.macro _global_load_d16_hi_b16 dst base src ioffset md0 md1 md2
    global_load_short_d16_hi \dst \base \src \ioffset \md0 \md1 \md2
.endm

.macro _global_load_d16_u8 dst base src ioffset md0 md1 md2
    global_load_ubyte_d16 \dst \base \src \ioffset \md0 \md1 \md2
.endm

.macro _global_load_d16_hi_u8 dst base src ioffset md0 md1 md2
    global_load_ubyte_d16_hi \dst \base \src \ioffset \md0 \md1 \md2
.endm

.macro _global_load_u16 dst base src ioffset md0 md1 md2
    global_load_ushort \dst \base \src \ioffset \md0 \md1 \md2
.endm

.macro _global_store_b32 base src src2 md0 md1 md2
    global_store_dword \base \src \src2 \md0 \md1 \md2
.endm

.macro _global_store_b64 base src src2 md0 md1 md2
    global_store_dwordx2 \base \src \src2 \md0 \md1 \md2
.endm

.macro _global_store_b96 base src src2 md0 md1 md2
    global_store_dwordx3 \base \src \src2 \md0 \md1 \md2
.endm

.macro _global_store_b128 base src src2 md0 md1 md2
    global_store_dwordx4 \base \src \src2 \md0 \md1 \md2
.endm

.macro _global_store_d16_b16 base src src2 md0 md1 md2
    global_store_short \base \src \src2 \md0 \md1 \md2
.endm

.macro _global_store_d16_hi_b16 base src src2 md0 md1 md2
    global_store_short_d16_hi \base \src \src2 \md0 \md1 \md2
.endm

.macro _global_store_d16_u8 base src src2 md0 md1 md2
    global_store_ubyte_d16 \base \src \src2 \md0 \md1 \md2
.endm

.macro _global_store_d16_hi_u8 base src src2 md0 md1 md2
    global_store_ubyte_d16_hi \base \src \src2 \md0 \md1 \md2
.endm

.macro _global_store_u16 base src src2 md0 md1 md2
    global_store_ushort \base \src \src2 \md0 \md1 \md2
.endm

.macro _global_atomic_cmpswap_b32 tmp base data src ioffset md
    global_atomic_cmpswap \tmp \base \data \src \ioffset \md
.endm

.macro _global_atomic_cmpswap_b64 tmp base data src ioffset md
    global_atomic_cmpswap_x2 \tmp \base \data \src \ioffset \md
.endm


/******************************************/
/* Magic div and mod functions            */
/******************************************/
.macro V_MAGIC_DIV dstIdx:req, dividend:req, magicNumber:req, magicShift:req, magicA:req
    v_mul_hi_u32 v[\dstIdx+1], \dividend, \magicNumber
    v_mul_lo_u32 v[\dstIdx+0], \dividend, \magicA
    _v_add_u32 v[\dstIdx+0], v[\dstIdx+0], v[\dstIdx+1]
    v_lshrrev_b32 v[\dstIdx+0], \magicShift, v[\dstIdx+0]
.endm

/******************************************/
/* VGPR Assignments                       */
/******************************************/
/* ValuC range: [0-0), serializedStore enabled */
.set vgprValuC, 0
/* ValuA/B   Xn=PLR buffer idx,  In=InnerUnroll idx */
.set vgprValuA_X0_I0, 0
.set vgprValuA_X1_I0, 2
.set vgprG2LA, 12
.set vgprValuB_X0_I0, 4
.set vgprValuB_X1_I0, 6
.set vgprG2LB, 20
.set vgprLocalWriteAddrA, 8
.set vgprLocalWriteAddrB, 9
.set vgprGlobalReadOffsetA, 10
.set vgprGlobalReadOffsetB, 11
.set vgprLocalReadAddrA, 28
.set vgprLocalReadAddrB, 29
.set vgprSerial, 30
/* Num VGPR=256 */
/* Num AccVGPR=64 */

/******************************************/
/* SGPR Assignments                       */
/******************************************/
.set sgprKernArgAddress, 0 // (2)
.set sgprWorkGroup0, 2 // (1)
.set sgprWorkGroup1, 3 // (1)
.set sgprWorkGroup2, 4 // (1)
.set sgprLoopCounterL, 5 // (1)
.set sgprOrigLoopCounter, 6 // (1)
.set sgprSrdA, 8 // (4)
.set sgprSrdB, 12 // (4)
.set sgprSrdD, 16 // (4)
.set sgprSrdC, 20 // (4)
.set sgprTensor2dSizeA, 24 // (2)
.set sgprTensor2dSizeB, 26 // (2)
.set sgprAddressD, 28 // (2)
.set sgprAddressC, 30 // (2)
.set sgprAddressA, 32 // (2)
.set sgprAddressB, 34 // (2)
.set sgprAlpha, 36 // (1)
.set sgprBeta, 37 // (1)
.set sgprStridesD, 38 // (2)
.set sgprStridesC, 40 // (2)
.set sgprStridesA, 42 // (2)
.set sgprStridesB, 44 // (2)
.set sgprSizesFree, 46 // (3)
.set sgprSizesSum, 49 // (1)
.set sgprOrigStaggerUIter, 50 // (1)
.set sgprNumWorkGroups0, 51 // (1)
.set sgprNumWorkGroups1, 52 // (1)
.set sgprNumFullBlocks, 53 // (1)
.set sgprWgmRemainder1, 54 // (1)
.set sgprMagicNumberWgmRemainder1, 55 // (1)
.set sgprShadowLimitA, 0 // (2)
.set sgprShadowLimitB, 28 // (2)
.set sgprStaggerUIter, 7 // (1)
.set sgprWrapUA, 30 // (2)
.set sgprWrapUB, 32 // (2)
.set sgprGlobalReadIncsA, 34 // (1)
.set sgprGlobalReadIncsB, 35 // (1)
.set sgprScalarGlobalReadOffsetA, 58 // (1)
.set sgprScalarGlobalReadOffsetB, 59 // (1)
/* max SGPR=65 */

/* Size Assignments */
.set sgprSizeI, sgprSizesFree+0
.set sgprSizeJ, sgprSizesFree+1
.set sgprSizeK, sgprSizesFree+2
.set sgprSizeL, sgprSizesSum+0

/* Stride Assignments */
.set constStrideD0I, 1
.set sgprStrideD1J, sgprStridesD+0
.set sgprStrideDK, sgprStridesD+1
.set constStrideC0I, 1
.set sgprStrideC1J, sgprStridesC+0
.set sgprStrideCK, sgprStridesC+1
.set constStrideAL, 1
.set sgprStrideA0I, sgprStridesA+0
.set sgprStrideAK, sgprStridesA+1
.set constStrideBL, 1
.set sgprStrideB1J, sgprStridesB+0
.set sgprStrideBK, sgprStridesB+1

.set MT0, 128
.set MT1, 128
.set DepthU, 32
.set GSU, 1
.set BpeA, 2
.set BpeALog2, 1
.set BpeB, 2
.set BpeBLog2, 1
/* Number of elements to shift-left SRD */
.set SrdShiftLeftA, 8
.set SrdShiftLeftB, 8
/* 2GB limit - set offsets to -1 to exceed this and clamp */
.set BufferLimitA, 0xffffffff
.set BufferLimitB, 0xffffffff
.set BufferOOB, 0xfffff000

/******************************************/
/* Bits 127:96 of SRD.                    */
/* hex: 0x00020000                        */
/* dst_sel_x (3b): 0                      */
/* dst_sel_y (3b): 0                      */
/* dst_sel_z (3b): 0                      */
/* dst_sel_w (3b): 0                      */
/* num_format (3b): 0                     */
/* data_format (4b): 4                    */
/* user_vm_enable (1b): 0                 */
/* user_vm_mode (1b): 0                   */
/* index_stride (2b): 0                   */
/* add_tid_enable (1b): 0                 */
/* _unusedA (3b): 0                       */
/* nv (1b): 0                             */
/* _unusedB (2b): 0                       */
/* type (2b): 0                           */
/******************************************/
.set Srd127_96, 0x00020000

/* Global Offset A */
.macro GLOBAL_OFFSET_A vgprAddr:req vgprOffsetL:req vgprOffset0I:req vgprTmp:req
v_mul_lo_u32 v[\vgprTmp+0], s[sgprStrideA0I], v[\vgprOffset0I] // mul d1 lower
_v_add_co_u32 v[\vgprAddr+0], vcc, v[\vgprOffsetL], v[\vgprTmp+0] // accumulate K lower
_v_add_u32 v[\vgprAddr+0], 0x8, v[\vgprAddr+0]     // add prepad for pointer shift
v_lshlrev_b32 v[\vgprAddr+0], 0x1, v[\vgprAddr+0]  // offset *= bytes/element
.endm

/* Global Offset B */
.macro GLOBAL_OFFSET_B vgprAddr:req vgprOffsetL:req vgprOffset1J:req vgprTmp:req
v_mul_lo_u32 v[\vgprTmp+0], s[sgprStrideB1J], v[\vgprOffset1J] // mul d1 lower
_v_add_co_u32 v[\vgprAddr+0], vcc, v[\vgprOffsetL], v[\vgprTmp+0] // accumulate K lower
_v_add_u32 v[\vgprAddr+0], 0x8, v[\vgprAddr+0]     // add prepad for pointer shift
v_lshlrev_b32 v[\vgprAddr+0], 0x1, v[\vgprAddr+0]  // offset *= bytes/element
.endm

/******************************************/
/* Dynamic Scalar Divide: vQuotient=vDividend/vDivisor; vRemainder=vDividend%vDivisor; */
/******************************************/
.macro DYNAMIC_VECTOR_DIVIDE vQuotient vRemainder vDividend vDivisor vTmp0 vTmp1 sTmp
v_cvt_f32_u32 v[\vQuotient], v[\vDivisor]          // 
v_rcp_f32 v[\vQuotient], v[\vQuotient]             // 
v_mul_f32 v[\vQuotient], 0x4f800000, v[\vQuotient] // 
v_cvt_u32_f32 v[\vQuotient], v[\vQuotient]         // 
v_mul_lo_u32 v[\vRemainder], v[\vDivisor], v[\vQuotient] // 
v_mul_hi_u32 v[\vTmp0], v[\vDivisor], v[\vQuotient] // 
_v_sub_co_u32 v[\vTmp1], vcc, 0x0, v[\vRemainder]  // 
v_cmp_ne_i32 s[\sTmp:\sTmp+1], 0x0, v[\vTmp0]      // 
v_cndmask_b32 v[\vRemainder], v[\vTmp1], v[\vRemainder], s[\sTmp:\sTmp+1] // 
v_mul_hi_u32 v[\vRemainder], v[\vRemainder], v[\vQuotient] // 
_v_sub_co_u32 v[\vTmp0], vcc, v[\vQuotient], v[\vRemainder] // 
_v_add_co_u32 v[\vQuotient], vcc, v[\vQuotient], v[\vRemainder] // 
v_cndmask_b32 v[\vQuotient], v[\vQuotient], v[\vTmp0], s[\sTmp:\sTmp+1] // 
v_mul_hi_u32 v[\vQuotient], v[\vQuotient], v[\vDividend] // 
v_mul_lo_u32 v[\vRemainder], v[\vQuotient], v[\vDivisor] // 
_v_sub_co_u32 v[\vTmp0], vcc, v[\vDividend], v[\vRemainder] // 
v_cmp_ge_u32 s[\sTmp:\sTmp+1], v[\vDividend], v[\vRemainder] // 
_v_add_co_u32 v[\vRemainder], vcc, 0x1, v[\vQuotient] // 
_v_add_co_u32 v[\vTmp1], vcc, -1, v[\vQuotient]    // 
v_cmp_le_u32 vcc, v[\vDivisor], v[\vTmp0]          // 
s_and_b64 vcc, s[\sTmp:\sTmp+1], vcc               // 
v_cndmask_b32 v[\vQuotient], v[\vQuotient], v[\vRemainder], vcc // 
v_cndmask_b32 v[\vQuotient], v[\vTmp1], v[\vQuotient], s[\sTmp:\sTmp+1] // 
v_cmp_ne_i32 vcc, 0x0, v[\vDivisor]                // 
v_cndmask_b32 v[\vQuotient], -1, v[\vQuotient], vcc // final result
v_mul_lo_u32 v[\vRemainder], v[\vQuotient], v[\vDivisor] // 
_v_sub_co_u32 v[\vRemainder], vcc, v[\vDividend], v[\vRemainder] // final result
.endm


	;; [unrolled: 1-line block ×3, first 2 shown]
/******************************************/
/* Allocate Resources                     */
/******************************************/

Cijk_Alik_Bljk_BBS_BH_MT128x128x32_MI32x32x4x1_SE_1LDSB0_APM1_AF0EM1_AF1EM1_AMAS3_ASE_ASAE01_ASCE01_ASEM1_BL1_DTLA0_DTLB0_DVO0_EPS1_FL0_GLVWA8_GLVWB8_GRVW8_GSU1_GSUASB_ISA908_IU1_K1_KLA_LBSPPA128_LBSPPB128_LPA8_LPB8_LDL1_LRVW2_LDW0_MAC_MDA2_MMFGLC_NTC0_NTD0_NEPBS0_NLCA1_NLCB1_ONLL1_OPLV0_PK0_PAP0_PGR1_PLR1_SIA3_SS0_SU32_SUM0_SUS256_SPO0_SRVW0_SSO0_SVW4_SNLL0_TT2_64_TLDS1_UMLDSA1_UMLDSB1_USFGROn1_VAW1_VSn1_VW2_VWB2_WSGRA0_WSGRB0_WG64_4_1_WGM4_preloaded: // Kernel start when preloading

/* Load Kernel Args */
_s_load_b512 s[24:39], s[sgprKernArgAddress:sgprKernArgAddress+1], 0x0 // 
_s_load_b512 s[40:55], s[sgprKernArgAddress:sgprKernArgAddress+1], 0x40 // 
s_mov_b32 m0, 0xc800                               // LDS clamp at 51200 bytes
v_mov_b32 v[vgprSerial], v0                        // thread serial id

/******************************************/
/* Local Read Addresses                   */
/******************************************/


/* local read addresses: tile assignments a/b */

/*lr0I*/
v_and_b32 v1, 63, v[vgprSerial]                    // 0. thread id in wave: wtid = tid % wavelength(64)
v_and_b32 v0, 31, v1                               // 1. N offset: nIdx = wtid % MI_N(32)
v_lshlrev_b32 v0, 0x5, v0                          // 1. N offset: nOffset = nIdx * nStride(32)
                                                   // 2. block offset: bnIdx = bnIdx % num1DBlocks(1) is 0. do nothing
v_lshlrev_b32 v0, 0x1, v0                          // 4. apply VectorWidth: bnOffset = bnOffset * vw(2)
v_lshrrev_b32 v1, 5, v1                            // 5. K offset: kIdx = wtid / (MIN(32) * MIBB(1))
v_lshlrev_b32 v1, 0x1, v1                          // 5. K offset: lrKOffset = kIdx * mStride(2)
_v_add_u32 v0, v1, v0                              // 6. offset in wave: lrOffset = bnOffset + lrKOffset
v_lshrrev_b32 v2, 6, v[vgprSerial]                 // 7. wave offset in N dimen: wtid = tid / dividedForWaveId(64)
v_and_b32 v1, 1, v2                                // 7. wave offset in M dimen: wtid0 = wtid / num1DWaves(2)
v_lshlrev_b32 v1, 0xb, v1                          // 7. wave offset in M dimen: wOffset = wtid0 * W0Stride(2048)
_v_add_u32 v0, v1, v0                              // 8. final local read offset: flrOffset = lrOffset + WOffset
/*lr1J*/
v_and_b32 v2, 63, v[vgprSerial]                    // 0. thread id in wave: wtid = tid % wavelength(64)
v_and_b32 v1, 31, v2                               // 1. N offset: nIdx = wtid % MI_N(32)
v_lshlrev_b32 v1, 0x5, v1                          // 1. N offset: nOffset = nIdx * nStride(32)
                                                   // 2. block offset: bnIdx = bnIdx % num1DBlocks(1) is 0. do nothing
v_lshlrev_b32 v1, 0x1, v1                          // 4. apply VectorWidth: bnOffset = bnOffset * vw(2)
v_lshrrev_b32 v2, 5, v2                            // 5. K offset: kIdx = wtid / (MIN(32) * MIBB(1))
v_lshlrev_b32 v2, 0x1, v2                          // 5. K offset: lrKOffset = kIdx * mStride(2)
_v_add_u32 v1, v2, v1                              // 6. offset in wave: lrOffset = bnOffset + lrKOffset
v_lshrrev_b32 v3, 7, v[vgprSerial]                 // 7. wave offset in N dimen: wtid = tid / dividedForWaveId(128)
v_and_b32 v2, 1, v3                                // 7. wave offset in M dimen: wtid0 = wtid / num1DWaves(2)
v_lshlrev_b32 v2, 0xb, v2                          // 7. wave offset in M dimen: wOffset = wtid0 * W0Stride(2048)
_v_add_u32 v1, v2, v1                              // 8. final local read offset: flrOffset = lrOffset + WOffset


/* local read addresses: final offsets a */

v_lshlrev_b32 v[vgprLocalReadAddrA], 0x1, v0       // Final Offset: offset = (lro0)*bpe
v_lshrrev_b32 v0, 7, v[vgprLocalReadAddrA]         // Final Offset: padding 8 per block 128
v_lshlrev_b32 v0, 0x4, v0                          // Final Offset: padding 8 per block 128
_v_add_u32 v[vgprLocalReadAddrA], v0, v[vgprLocalReadAddrA] // Final Offset: add padding 8 per block 128


/* local read addresses: final offsets b */

v_lshlrev_b32 v[vgprLocalReadAddrB], 0x1, v1       // Final Offset: offset = (lro1)*bpe
v_lshrrev_b32 v0, 7, v[vgprLocalReadAddrB]         // Final Offset: padding 8 per block 128
v_lshlrev_b32 v0, 0x4, v0                          // Final Offset: padding 8 per block 128
_v_add_u32 v[vgprLocalReadAddrB], v0, v[vgprLocalReadAddrB] // Final Offset: add padding 8 per block 128


/* local read addresses: declare addresses a */

/* N/A */


/* local read addresses: declare addresses b */

_v_add_co_u32 v[vgprLocalReadAddrB+0], vcc, 0x2400, v[vgprLocalReadAddrB+0] //  += LdsOffsetB (lower)


/* global read addresses: tile offset assignment a */

/* LVCA = 4 */
/* v0 = (local)groA-tile = serial/LVCA (note (wgA*MTA) will be added to SRD) */
/* v1 = groA-unroll = serial%LVCA */
v_lshrrev_b32 v0, 2, v[vgprSerial]                 // v0 = v[vgprSerial] / 4
v_and_b32 v1, 3, v[vgprSerial]                     // v1 = v[vgprSerial] % 4
/* gro-unroll *= glvw */
v_lshlrev_b32 v1, 0x3, v1                          // v1 = v1 * 8


/* global read addresses: tile offset assignment b */

/* LVCB = 4 */
/* v2 = (local)groB-tile = serial/LVCB (note (wgB*MTB) will be added to SRD) */
/* v3 = groB-unroll = serial%LVCB */
v_lshrrev_b32 v2, 2, v[vgprSerial]                 // v2 = v[vgprSerial] / 4
v_and_b32 v3, 3, v[vgprSerial]                     // v3 = v[vgprSerial] % 4
/* gro-unroll *= glvw */
v_lshlrev_b32 v3, 0x3, v3                          // v3 = v3 * 8


/******************************************/
/* Local Write Addresses                  */
/******************************************/

/* lwaTileAssignmentA = v0 */

/* lwaTileAssignmentB = v2 */

/* lwaUnrollAssignmentA = v1 */

/* lwaUnrollAssignmentB = v3 */


/* local write addresses: first offset a */

v_mul_u32_u24 v[vgprLocalWriteAddrA], 0x20, v0     // lwAL**(DepthU_Compute + PAD)
_v_add_lshl_u32 v[vgprLocalWriteAddrA], v1, v[vgprLocalWriteAddrA], 0x1 // lwFOA = (lwAA + lwAL*(DepthU+PAD))*bpe
v_lshrrev_b32 v4, 7, v[vgprLocalWriteAddrA]        // padding 8 per block 128
v_lshlrev_b32 v4, 0x4, v4                          // padding 8 per block 128
_v_add_u32 v[vgprLocalWriteAddrA], v4, v[vgprLocalWriteAddrA] // add padding 8 per block 128


/* local write addresses: first offset b */

v_mul_u32_u24 v[vgprLocalWriteAddrB], 0x20, v2     // lwBL**(DepthU_Compute + PAD)
_v_add_lshl_u32 v[vgprLocalWriteAddrB], v3, v[vgprLocalWriteAddrB], 0x1 // lwFOB = (lwBB + lwBL*(DepthU+PAD))*bpe
v_lshrrev_b32 v4, 7, v[vgprLocalWriteAddrB]        // padding 8 per block 128
v_lshlrev_b32 v4, 0x4, v4                          // padding 8 per block 128
_v_add_u32 v[vgprLocalWriteAddrB], v4, v[vgprLocalWriteAddrB] // add padding 8 per block 128
_v_add_co_u32 v[vgprLocalWriteAddrB], vcc, 0x2400, v[vgprLocalWriteAddrB] // lwFOB = lwB1J + lwBL*MT1J + LDS_OFFSET_B=4608*2


	;; [unrolled: 1-line block ×7, first 2 shown]
s_waitcnt lgkmcnt(0)                               // wait for 128 bytes of kern args
s_mov_b64 s[sgprSrdC+0:sgprSrdC+0+1], s[sgprAddressC+0:sgprAddressC+0+1] // copy addressC
s_mov_b64 s[sgprSrdD+0:sgprSrdD+0+1], s[sgprAddressD+0:sgprAddressD+0+1] // copy addressD
s_sub_u32 s[sgprSrdA+0], s[sgprAddressA+0], 16     // pre-pad to make room for possible pointer shift
s_subb_u32 s[sgprSrdA+1], s[sgprAddressA+1], 0     // pre-pad to make room for possible pointer shift
s_sub_u32 s[sgprSrdB+0], s[sgprAddressB+0], 16     // pre-pad to make room for possible pointer shift
s_subb_u32 s[sgprSrdB+1], s[sgprAddressB+1], 0     // pre-pad to make room for possible pointer shift

.set AddressD, UNDEF
.set AddressC, UNDEF
.set AddressA, UNDEF
.set AddressB, UNDEF

/* Short circuit condition if Alpha == 0, then sumDims=0 */
v_cmp_eq_f32 vcc, s[sgprAlpha], 0.0                // Alpha == 0.0f ?
s_cbranch_vccz label_AlphaNonZero                  // branch if alpha != 0
s_mov_b32 s[sgprSizesSum+0], 0x0                   // Set summation dim=0 if Alpha == 0
label_AlphaNonZero:


	;; [unrolled: 1-line block ×3, first 2 shown]
/******************************************/
/* Begin setupNewTile, isPap=False           */
/******************************************/


/* global read addresses: work-group */

/* graWorkGroup mapping */
s_mov_b32 s63, 0x20000001L                         // magic number for WGM==4
s_mul_hi_u32 s61, s[sgprWorkGroup1], s63           // s_magic mul
s_mul_i32 s60, s[sgprWorkGroup1], s63              // s_magic mul
s_lshr_b64 s[60:61], s[60:61], 31                  // sMagicDiv
s_mul_i32 s61, s60, 4                              // quotient * non-magic divisor
s_sub_u32 s61, s[sgprWorkGroup1], s61              // WorkGroup1=remainder
s_mul_i32 s61, s61, s[sgprNumWorkGroups0]          // (wg1 % WGM)*nwg0
s_add_u32 s61, s61, s[sgprWorkGroup0]              // wgSerial = wg0 + (wg1 % WGM)*nwg1
s_cmp_ge_u32 s60, s[sgprNumFullBlocks]             // blockId >= numFullBlocks ?
s_cmov_b32 s63, s[sgprMagicNumberWgmRemainder1]    // 
s_cselect_b32 s62, s[sgprWgmRemainder1], 4         // 
s_mul_hi_u32 s3, s61, s63                          // s_magic mul
s_mul_i32 s2, s61, s63                             // s_magic mul
s_lshr_b64 s[2:3], s[2:3], 31                      // sMagicDiv
s_mul_i32 s[sgprWorkGroup1], s[sgprWorkGroup0], s62 // quotient * non-magic divisor
s_sub_u32 s[sgprWorkGroup1], s61, s[sgprWorkGroup1] // WorkGroup1=remainder
s_mul_i32 s60, s60, 4                              // blockId * WGM
s_add_u32 s[sgprWorkGroup1], s[sgprWorkGroup1], s60 // wg1 += blockId * WGM


/* global read addresses: unroll assignment a */

/* v1 */


/* global read addresses: unroll assignment b */

/* v3 */


/* global read addresses: other free assignments */

/* s[sgprWorkGroup2] */


/* global read addresses: tile offsets a */


	;; [unrolled: 1-line block ×3, first 2 shown]
/* global read addresses: tile offsets b */


	;; [unrolled: 1-line block ×3, first 2 shown]
/* global read addresses: unroll offsets a */


	;; [unrolled: 1-line block ×3, first 2 shown]
/* global read addresses: unroll offsets b */


	;; [unrolled: 1-line block ×3, first 2 shown]
/* global read addresses: final offsets a */

GLOBAL_OFFSET_A vgprGlobalReadOffsetA+0,  1,  0, 4 // gROA_0_0_0_0
s_mul_i32 s[sgprScalarGlobalReadOffsetA+0], s[sgprStrideA0I], 64 // compute offset diff (scaled tileDim)
s_lshl_b32 s[sgprScalarGlobalReadOffsetA+0], s[sgprScalarGlobalReadOffsetA+0], 0x1 // scalar offset *= bytes/element


/* global read addresses: final offsets b */

GLOBAL_OFFSET_B vgprGlobalReadOffsetB+0,  3,  2, 4 // gROB_0_0_0_0
s_mul_i32 s[sgprScalarGlobalReadOffsetB+0], s[sgprStrideB1J], 64 // compute offset diff (scaled tileDim)
s_lshl_b32 s[sgprScalarGlobalReadOffsetB+0], s[sgprScalarGlobalReadOffsetB+0], 0x1 // scalar offset *= bytes/element


/* global read addresses: addresses a */

/* max read offset = size[n] * stride[n-1] */
s_mul_hi_u32 s63, s[sgprWorkGroup0], 128           // WorkGroup[01] * MT
s_mul_i32 s62, s[sgprWorkGroup0], 128              // WorkGroup[01] * MT
s_mul_hi_u32 s63, s62, s[sgprStrideA0I]            // tlu=0, scaled tile-offset by stride
s_mul_i32 s62, s62, s[sgprStrideA0I]               // tlu=0, scaled tile-offset by stride
s_sub_u32 s[sgprShadowLimitA+0], s[sgprTensor2dSizeA], s62 // sub tileStart
s_subb_u32 s[sgprShadowLimitA+1], s[sgprTensor2dSizeA+1], s63 // sub tileStart
s_lshl_b64 s[sgprShadowLimitA:sgprShadowLimitA+1], s[sgprShadowLimitA:sgprShadowLimitA+1], 0x1 // Set limit to use bytes
s_add_u32 s[sgprShadowLimitA+0], s[sgprShadowLimitA+0], 16 // extend limit for pre-pad
s_addc_u32 s[sgprShadowLimitA+1], s[sgprShadowLimitA+1], 0 // extend limit for pre-pad
s_cmp_eq_u32 s[sgprShadowLimitA+1], 0              // are we within 2^32?
s_cselect_b32 s[sgprSrdA+2], s[sgprShadowLimitA+0], BufferLimitA // Move shadow to real if we are within 2^32
s_mul_hi_u32 s61, s[sgprStrideAK], s[sgprWorkGroup2] // Stride*WG
s_mul_i32 s60, s[sgprStrideAK], s[sgprWorkGroup2]  // Stride*WG
s_add_u32 s62, s62, s60                            // accum wg term to tilestart
s_addc_u32 s63, s63, s61                           // accum wg term to tilestart
s_lshl_b64 s[62:63], s[62:63], 0x1                 // tileStart *= BPE
s_add_u32 s[sgprSrdA+0], s[sgprSrdA+0], s62        // SRD base = Address+ tileStart0
s_addc_u32 s[sgprSrdA+1], s[sgprSrdA+1], s63       // SRD base = Address+ tileStart1
s_mov_b32 s[sgprSrdA+3], Srd127_96                 // Set bits 127_96 in SRD


/* global read addresses: addresses b */

/* max read offset = size[n] * stride[n-1] */
s_mul_hi_u32 s63, s[sgprWorkGroup1], 128           // WorkGroup[01] * MT
s_mul_i32 s62, s[sgprWorkGroup1], 128              // WorkGroup[01] * MT
s_mul_hi_u32 s63, s62, s[sgprStrideB1J]            // tlu=0, scaled tile-offset by stride
s_mul_i32 s62, s62, s[sgprStrideB1J]               // tlu=0, scaled tile-offset by stride
s_sub_u32 s[sgprShadowLimitB+0], s[sgprTensor2dSizeB], s62 // sub tileStart
s_subb_u32 s[sgprShadowLimitB+1], s[sgprTensor2dSizeB+1], s63 // sub tileStart
s_lshl_b64 s[sgprShadowLimitB:sgprShadowLimitB+1], s[sgprShadowLimitB:sgprShadowLimitB+1], 0x1 // Set limit to use bytes
s_add_u32 s[sgprShadowLimitB+0], s[sgprShadowLimitB+0], 16 // extend limit for pre-pad
s_addc_u32 s[sgprShadowLimitB+1], s[sgprShadowLimitB+1], 0 // extend limit for pre-pad
s_cmp_eq_u32 s[sgprShadowLimitB+1], 0              // are we within 2^32?
s_cselect_b32 s[sgprSrdB+2], s[sgprShadowLimitB+0], BufferLimitB // Move shadow to real if we are within 2^32
s_mul_hi_u32 s61, s[sgprStrideBK], s[sgprWorkGroup2] // Stride*WG
s_mul_i32 s60, s[sgprStrideBK], s[sgprWorkGroup2]  // Stride*WG
s_add_u32 s62, s62, s60                            // accum wg term to tilestart
s_addc_u32 s63, s63, s61                           // accum wg term to tilestart
s_lshl_b64 s[62:63], s[62:63], 0x1                 // tileStart *= BPE
s_add_u32 s[sgprSrdB+0], s[sgprSrdB+0], s62        // SRD base = Address+ tileStart0
s_addc_u32 s[sgprSrdB+1], s[sgprSrdB+1], s63       // SRD base = Address+ tileStart1
s_mov_b32 s[sgprSrdB+3], Srd127_96                 // Set bits 127_96 in SRD


/* global read addresses: increments a */

s_mov_b32 s[sgprGlobalReadIncsA+0], DepthU*BpeA    // incrA (unrollIdx)


/* global read addresses: increments b */

s_mov_b32 s[sgprGlobalReadIncsB+0], DepthU*BpeB    // incrB (unrollIdx)

/* declare loop num iterations */


s_lshr_b32 s[sgprLoopCounterL], s[sgprSizesSum+0], 5 // s[sgprLoopCounterL] = s[sgprSizesSum+0] / 32
s_mov_b32 s[sgprOrigLoopCounter], s[sgprLoopCounterL] // copy loop counter

s_and_b32 s[sgprStaggerUIter], s[sgprOrigStaggerUIter], s[sgprWorkGroup0] // Compute actual stagger start for this tile
s_lshl_b32 s[sgprStaggerUIter], s[sgprStaggerUIter], 2 // shift by StaggerUStride


/* SRDs += (StaggerUIter) * GlobalReadIncsA+0 */
s_mul_hi_u32 s61, s[sgprStaggerUIter], s[sgprGlobalReadIncsA+0] //  stagger byte offset
s_mul_i32 s60, s[sgprStaggerUIter], s[sgprGlobalReadIncsA+0] //  stagger byte offset
s_mul_hi_u32 s[sgprWrapUA+1], s[sgprLoopCounterL], s[sgprGlobalReadIncsA+0] // Number of bytes accessed by the unroll loop
s_mul_i32 s[sgprWrapUA+0], s[sgprLoopCounterL], s[sgprGlobalReadIncsA+0] // Number of bytes accessed by the unroll loop
s_sub_u32 s[sgprWrapUA+0], s[sgprGlobalReadIncsA+0], s[sgprWrapUA+0] // remove one iteration
s_subb_u32 s[sgprWrapUA+1], 0, s[sgprWrapUA+1]     // remove one iteration
s_add_u32 s[sgprSrdA+0], s[sgprSrdA+0], s60        // gra SRD += inc(lower)
s_addc_u32  s[sgprSrdA+1], s[sgprSrdA+1], s61      // gra SRD += inc(upper)
s_sub_u32 s[sgprShadowLimitA+0], s[sgprShadowLimitA+0], s60 // limit -= inc)
s_subb_u32 s[sgprShadowLimitA+1], s[sgprShadowLimitA+1], s61 // limit -= inc)
s_cmp_eq_u32 s[sgprShadowLimitA+1], 0              // are we within 2^32?
s_cselect_b32 s[sgprSrdA+2], s[sgprShadowLimitA+0], BufferLimitA // Move shadow to real if we are within 2^32


/* SRDs += (StaggerUIter) * GlobalReadIncsB+0 */
s_mul_hi_u32 s61, s[sgprStaggerUIter], s[sgprGlobalReadIncsB+0] //  stagger byte offset
s_mul_i32 s60, s[sgprStaggerUIter], s[sgprGlobalReadIncsB+0] //  stagger byte offset
s_mul_hi_u32 s[sgprWrapUB+1], s[sgprLoopCounterL], s[sgprGlobalReadIncsB+0] // Number of bytes accessed by the unroll loop
s_mul_i32 s[sgprWrapUB+0], s[sgprLoopCounterL], s[sgprGlobalReadIncsB+0] // Number of bytes accessed by the unroll loop
s_sub_u32 s[sgprWrapUB+0], s[sgprGlobalReadIncsB+0], s[sgprWrapUB+0] // remove one iteration
s_subb_u32 s[sgprWrapUB+1], 0, s[sgprWrapUB+1]     // remove one iteration
s_add_u32 s[sgprSrdB+0], s[sgprSrdB+0], s60        // gra SRD += inc(lower)
s_addc_u32  s[sgprSrdB+1], s[sgprSrdB+1], s61      // gra SRD += inc(upper)
s_sub_u32 s[sgprShadowLimitB+0], s[sgprShadowLimitB+0], s60 // limit -= inc)
s_subb_u32 s[sgprShadowLimitB+1], s[sgprShadowLimitB+1], s61 // limit -= inc)
s_cmp_eq_u32 s[sgprShadowLimitB+1], 0              // are we within 2^32?
s_cselect_b32 s[sgprSrdB+2], s[sgprShadowLimitB+0], BufferLimitB // Move shadow to real if we are within 2^32
s_add_u32 s[sgprStaggerUIter], s[sgprStaggerUIter], 2 // Subtract (PGR-1); StaggerUIter now contains target iteration to wrap

/* local read addresses: init pointers a */


/* localReadInitPointers */

/* local read addresses: init pointers b */


/* localReadInitPointers */


/* prefetch: global -> local */

s_cmp_eq_u32 s[sgprLoopCounterL], 0                // at last iteration?
s_cbranch_scc1 ShadowInitStart_10                  // skip to ShadowInitStart iter b/c numIter==0


_buffer_load_b128 v[vgprG2LA+0:vgprG2LA+0+3], v[vgprGlobalReadOffsetA+0], s[sgprSrdA:sgprSrdA+3], 0, offen offset:0 // G -> Reg 0_0_0_0
_buffer_load_b128 v[vgprG2LA+4:vgprG2LA+4+3], v[vgprGlobalReadOffsetA+0], s[sgprSrdA:sgprSrdA+3], s[sgprScalarGlobalReadOffsetA+0], offen offset:0 // G -> Reg 0_0_1_0


_buffer_load_b128 v[vgprG2LB+0:vgprG2LB+0+3], v[vgprGlobalReadOffsetB+0], s[sgprSrdB:sgprSrdB+3], 0, offen offset:0 // G -> Reg 0_0_0_0
_buffer_load_b128 v[vgprG2LB+4:vgprG2LB+4+3], v[vgprGlobalReadOffsetB+0], s[sgprSrdB:sgprSrdB+3], s[sgprScalarGlobalReadOffsetB+0], offen offset:0 // G -> Reg 0_0_1_0


/* global read inc A loopL */
s_add_u32 s62, s[sgprLoopCounterL], 1              // remove pf(1)
s_cmp_eq_u32 s[sgprStaggerUIter], s62              // Is this wrapIter? (pf)
s_cselect_b32 s60, s[sgprWrapUA+0], s[sgprGlobalReadIncsA+0] // incLower <- ?
s_cselect_b32 s61, s[sgprWrapUA+1], 0              // incUpper <- ?
s_add_u32 s[sgprSrdA+0], s[sgprSrdA+0], s60        // gra SRD += inc(lower)
s_addc_u32  s[sgprSrdA+1], s[sgprSrdA+1], s61      // gra SRD += inc(upper)
s_sub_u32 s[sgprShadowLimitA+0], s[sgprShadowLimitA+0], s60 // limit -= inc)
s_subb_u32 s[sgprShadowLimitA+1], s[sgprShadowLimitA+1], s61 // limit -= inc)
s_cmp_eq_u32 s[sgprShadowLimitA+1], 0              // are we within 2^32?
s_cselect_b32 s[sgprSrdA+2], s[sgprShadowLimitA+0], BufferLimitA // Move shadow to real if we are within 2^32

/* global read inc B loopL */
s_add_u32 s62, s[sgprLoopCounterL], 1              // remove pf(1)
s_cmp_eq_u32 s[sgprStaggerUIter], s62              // Is this wrapIter? (pf)
s_cselect_b32 s60, s[sgprWrapUB+0], s[sgprGlobalReadIncsB+0] // incLower <- ?
s_cselect_b32 s61, s[sgprWrapUB+1], 0              // incUpper <- ?
s_add_u32 s[sgprSrdB+0], s[sgprSrdB+0], s60        // gra SRD += inc(lower)
s_addc_u32  s[sgprSrdB+1], s[sgprSrdB+1], s61      // gra SRD += inc(upper)
s_sub_u32 s[sgprShadowLimitB+0], s[sgprShadowLimitB+0], s60 // limit -= inc)
s_subb_u32 s[sgprShadowLimitB+1], s[sgprShadowLimitB+1], s61 // limit -= inc)
s_cmp_eq_u32 s[sgprShadowLimitB+1], 0              // are we within 2^32?
s_cselect_b32 s[sgprSrdB+2], s[sgprShadowLimitB+0], BufferLimitB // Move shadow to real if we are within 2^32


/******************************************/
/* End setupNewTile, isPap=False             */
/******************************************/

ShadowInitStart_10: // 

s_mov_b32 s[sgprSrdD+2], BufferOOB                 // 
s_mov_b32 s[sgprSrdD+3], Srd127_96                 // Set bits 127_96 in post-loop SRD

s_mov_b32 s[sgprSrdC+2], BufferOOB                 // 
s_mov_b32 s[sgprSrdC+3], Srd127_96                 // Set bits 127_96 in post-loop SRD


s_mul_i32 s62, MT1, s[sgprWorkGroup1]              // <- wg1*MT1
s_mul_hi_u32 s61, s62, s[sgprStrideC1J]            // CScale s62 by Stride
s_mul_i32 s60, s62, s[sgprStrideC1J]               // CScale s62 by Stride
s_lshl_b64 s[60:61], s[60:61], 1                   // scale by bpe
s_add_u32 s[sgprSrdC+0], s[sgprSrdC+0], s60        // add lo to SRD
s_addc_u32 s[sgprSrdC+1], s[sgprSrdC+1], s61       // add hi to SRD
s_mul_hi_u32 s61, s62, s[sgprStrideD1J]            // Scale s62 by Stride
s_mul_i32 s60, s62, s[sgprStrideD1J]               // Scale s62 by Stride
s_lshl_b64 s[60:61], s[60:61], 1                   // scale by bpe
s_add_u32 s[sgprSrdD+0], s[sgprSrdD+0], s60        // add lo to SRD
s_addc_u32 s[sgprSrdD+1], s[sgprSrdD+1], s61       // add hi to SRD

s_mul_hi_u32 s61, s[sgprWorkGroup2], s[sgprStrideCK] // CScale s[sgprWorkGroup2] by Stride
s_mul_i32 s60, s[sgprWorkGroup2], s[sgprStrideCK]  // CScale s[sgprWorkGroup2] by Stride
s_lshl_b64 s[60:61], s[60:61], 1                   // scale by bpe
s_add_u32 s[sgprSrdC+0], s[sgprSrdC+0], s60        // add lo to SRD
s_addc_u32 s[sgprSrdC+1], s[sgprSrdC+1], s61       // add hi to SRD
s_mul_hi_u32 s61, s[sgprWorkGroup2], s[sgprStrideDK] // Scale s[sgprWorkGroup2] by Stride
s_mul_i32 s60, s[sgprWorkGroup2], s[sgprStrideDK]  // Scale s[sgprWorkGroup2] by Stride
s_lshl_b64 s[60:61], s[60:61], 1                   // scale by bpe
s_add_u32 s[sgprSrdD+0], s[sgprSrdD+0], s60        // add lo to SRD
s_addc_u32 s[sgprSrdD+1], s[sgprSrdD+1], s61       // add hi to SRD


	;; [unrolled: 1-line block ×3, first 2 shown]
/* initC: remove C-tile 0-0 from pool */

/* initC: remove AB-tile 0-8 from pool */
v_accvgpr_write acc0, 0x0                          // initC
v_accvgpr_write acc1, 0x0                          // initC
v_accvgpr_write acc2, 0x0                          // initC
v_accvgpr_write acc3, 0x0                          // initC
v_accvgpr_write acc4, 0x0                          // initC
v_accvgpr_write acc5, 0x0                          // initC
v_accvgpr_write acc6, 0x0                          // initC
v_accvgpr_write acc7, 0x0                          // initC
v_accvgpr_write acc8, 0x0                          // initC
v_accvgpr_write acc9, 0x0                          // initC
v_accvgpr_write acc10, 0x0                         // initC
v_accvgpr_write acc11, 0x0                         // initC
v_accvgpr_write acc12, 0x0                         // initC
v_accvgpr_write acc13, 0x0                         // initC
v_accvgpr_write acc14, 0x0                         // initC
v_accvgpr_write acc15, 0x0                         // initC
v_accvgpr_write acc16, 0x0                         // initC
v_accvgpr_write acc17, 0x0                         // initC
v_accvgpr_write acc18, 0x0                         // initC
v_accvgpr_write acc19, 0x0                         // initC
v_accvgpr_write acc20, 0x0                         // initC
v_accvgpr_write acc21, 0x0                         // initC
v_accvgpr_write acc22, 0x0                         // initC
v_accvgpr_write acc23, 0x0                         // initC
v_accvgpr_write acc24, 0x0                         // initC
v_accvgpr_write acc25, 0x0                         // initC
v_accvgpr_write acc26, 0x0                         // initC
v_accvgpr_write acc27, 0x0                         // initC
v_accvgpr_write acc28, 0x0                         // initC
v_accvgpr_write acc29, 0x0                         // initC
v_accvgpr_write acc30, 0x0                         // initC
v_accvgpr_write acc31, 0x0                         // initC
v_accvgpr_write acc32, 0x0                         // initC
v_accvgpr_write acc33, 0x0                         // initC
v_accvgpr_write acc34, 0x0                         // initC
v_accvgpr_write acc35, 0x0                         // initC
v_accvgpr_write acc36, 0x0                         // initC
v_accvgpr_write acc37, 0x0                         // initC
v_accvgpr_write acc38, 0x0                         // initC
v_accvgpr_write acc39, 0x0                         // initC
v_accvgpr_write acc40, 0x0                         // initC
v_accvgpr_write acc41, 0x0                         // initC
v_accvgpr_write acc42, 0x0                         // initC
v_accvgpr_write acc43, 0x0                         // initC
v_accvgpr_write acc44, 0x0                         // initC
v_accvgpr_write acc45, 0x0                         // initC
v_accvgpr_write acc46, 0x0                         // initC
v_accvgpr_write acc47, 0x0                         // initC
v_accvgpr_write acc48, 0x0                         // initC
v_accvgpr_write acc49, 0x0                         // initC
v_accvgpr_write acc50, 0x0                         // initC
v_accvgpr_write acc51, 0x0                         // initC
v_accvgpr_write acc52, 0x0                         // initC
v_accvgpr_write acc53, 0x0                         // initC
v_accvgpr_write acc54, 0x0                         // initC
v_accvgpr_write acc55, 0x0                         // initC
v_accvgpr_write acc56, 0x0                         // initC
v_accvgpr_write acc57, 0x0                         // initC
v_accvgpr_write acc58, 0x0                         // initC
v_accvgpr_write acc59, 0x0                         // initC
v_accvgpr_write acc60, 0x0                         // initC
v_accvgpr_write acc61, 0x0                         // initC
v_accvgpr_write acc62, 0x0                         // initC
v_accvgpr_write acc63, 0x0                         // initC

s_cmp_eq_u32 s[sgprLoopCounterL], 0                // at last iteration?

/* after InitC, skip to end of prefetch last iter if numIter==0 */
s_cbranch_scc0 label_NoBranch_11                   // Only branch on scc1
s_getpc_B64 s[60:61]                               // addr of next instr
s_add_i32 s62, PrefetchGlobalLastIterEnd_5, 0x4    // target branch offset
s_add_u32 s60, s60, s62                            // add target branch offset
s_addc_u32 s61, s61, 0                             // add high and carry
s_setpc_b64 s[60:61]                               // branch to PrefetchGlobalLastIterEnd_5
label_NoBranch_11:

s_waitcnt vmcnt(0)                                 // lgkmcnt=-1 vmcnt=0 8wait for global read


/* local write a */
_ds_store_b128 v[vgprLocalWriteAddrA], v[vgprG2LA+0:vgprG2LA+0+3] offset:0 // lwoA_0_0_0_0 = (0*LSCA)*(MT0I+PAD) + (0*LSPA) = 0
_ds_store_b128 v[vgprLocalWriteAddrA], v[vgprG2LA+4:vgprG2LA+4+3] offset:4608 // lwoA_0_0_1_0 = (0*LSCA)*(MT0I+PAD) + (1*LSPA) = 4608

/* local write b */
_ds_store_b128 v[vgprLocalWriteAddrB], v[vgprG2LB+0:vgprG2LB+0+3] offset:0 // lwoB_0_0_0_0 = (0*LSCB)*(MT1J+PAD) + (0*LSPB) = 0
_ds_store_b128 v[vgprLocalWriteAddrB], v[vgprG2LB+4:vgprG2LB+4+3] offset:4608 // lwoB_0_0_1_0 = (0*LSCB)*(MT1J+PAD) + (1*LSPB) = 4608


/* local write swap a */


/* (EPS=1) local write swap internal offset -> 32768 */


/* local write swap b */


/* (EPS=1) local write swap internal offset -> 32768 */


	;; [unrolled: 1-line block ×3, first 2 shown]
s_waitcnt lgkmcnt(0)                               // lgkmcnt=0 vmcnt=-10prefetch wait for local write

s_waitcnt lgkmcnt(0) & vmcnt(0)                    // force waitcnt0
s_barrier //


/* local read prefetch a */

_ds_load_b32 v[vgprValuA_X0_I0+0], v[vgprLocalReadAddrA] offset:0 // L -> Reg lro=0 swapByteOffset=0 ti=128 vIdx=0 rIdx=0 oIdx=0 buffer=0 iui=0
_ds_load_b32 v[vgprValuA_X0_I0+1], v[vgprLocalReadAddrA] offset:64 // L -> Reg lro=0 swapByteOffset=0 ti=128 vIdx=0 rIdx=0 oIdx=0 buffer=0 iui=0


/* local read prefetch b */

_ds_load_b32 v[vgprValuB_X0_I0+0], v[vgprLocalReadAddrB] offset:0 // L -> Reg lro=0 swapByteOffset=0 ti=128 vIdx=0 rIdx=0 oIdx=0 buffer=0 iui=0
_ds_load_b32 v[vgprValuB_X0_I0+1], v[vgprLocalReadAddrB] offset:64 // L -> Reg lro=0 swapByteOffset=0 ti=128 vIdx=0 rIdx=0 oIdx=0 buffer=0 iui=0


/* local read inc a */

/* N/A, lro->4 */
/* self.localReadDoCntA 1 self.localReadDoCntB 1 */


/* local read inc b */

/* N/A, lro->4 */
/* self.localReadDoCntA 1 self.localReadDoCntB 1 */


	;; [unrolled: 1-line block ×3, first 2 shown]
/******************************************/
/* Unrolled Loop(s) - Begin               */
/******************************************/

openLoopL_12:
s_cmp_le_u32 s[sgprLoopCounterL], 0x1              // LoopCounterL < EndCounter
s_cbranch_scc1 LoopEndL_2                          // do not enter LoopL
LoopBeginL_1:


/******************************************/
/* Unrolled Loop 1/2 - Begin              */
/******************************************/

label_0013: // LoopCopy1 


/* Begin Each Unroll: Check VGPR.checkin for INT8 LW */


	;; [unrolled: 1-line block ×3, first 2 shown]
/* iter 0 */

/*  grEndMfmaIndex:3, lwStartMfmaIndex:25, lwEndMfmaIndex:28  */
/*  numMfmaForLR:1, barrierMfmaIndex:30 */
/*  mfmaIndex:0  */
_buffer_load_b128 v[vgprG2LA+0:vgprG2LA+0+3], v[vgprGlobalReadOffsetA+0], s[sgprSrdA:sgprSrdA+3], 0, offen offset:0 // G -> Reg 0_0_0_0
s_waitcnt lgkmcnt(0)                               // lgkmcnt=0 vmcnt=-1wait for prior local read local write old=0, new=0 newLW=0 newLR=0
v_mfma_f32_32x32x4bf16 a[0+0:15+0], v[vgprValuA_X0_I0+0+0+0], v[vgprValuB_X0_I0+0+0+0], a[0:15]
/*  mfmaIndex:1  */
_ds_load_b32 v[vgprValuA_X1_I0+0], v[vgprLocalReadAddrA] offset:8 // L -> Reg lro=4 swapByteOffset=0 ti=128 vIdx=0 rIdx=0 oIdx=0 buffer=1 iui=0
_ds_load_b32 v[vgprValuB_X1_I0+0], v[vgprLocalReadAddrB] offset:8 // L -> Reg lro=4 swapByteOffset=0 ti=128 vIdx=0 rIdx=0 oIdx=0 buffer=1 iui=0
_ds_load_b32 v[vgprValuA_X1_I0+1], v[vgprLocalReadAddrA] offset:72 // L -> Reg lro=4 swapByteOffset=0 ti=128 vIdx=0 rIdx=0 oIdx=0 buffer=1 iui=0
_ds_load_b32 v[vgprValuB_X1_I0+1], v[vgprLocalReadAddrB] offset:72 // L -> Reg lro=4 swapByteOffset=0 ti=128 vIdx=0 rIdx=0 oIdx=0 buffer=1 iui=0
/* localReadsVacancy: latencyLeft 5 */
_buffer_load_b128 v[vgprG2LA+4:vgprG2LA+4+3], v[vgprGlobalReadOffsetA+0], s[sgprSrdA:sgprSrdA+3], s[sgprScalarGlobalReadOffsetA+0], offen offset:0 // G -> Reg 0_0_1_0
v_mfma_f32_32x32x4bf16 a[16+0:31+0], v[vgprValuA_X0_I0+1+0+0], v[vgprValuB_X0_I0+0+0+0], a[16:31]
/*  mfmaIndex:2  */
/* localReadsVacancy: latencyLeft 13 */
_buffer_load_b128 v[vgprG2LB+0:vgprG2LB+0+3], v[vgprGlobalReadOffsetB+0], s[sgprSrdB:sgprSrdB+3], 0, offen offset:0 // G -> Reg 0_0_0_0
v_mfma_f32_32x32x4bf16 a[48+0:63+0], v[vgprValuA_X0_I0+1+0+0], v[vgprValuB_X0_I0+1+0+0], a[48:63]
/*  mfmaIndex:3  */
/* localReadsVacancy: latencyLeft 13 */
_buffer_load_b128 v[vgprG2LB+4:vgprG2LB+4+3], v[vgprGlobalReadOffsetB+0], s[sgprSrdB:sgprSrdB+3], s[sgprScalarGlobalReadOffsetB+0], offen offset:0 // G -> Reg 0_0_1_0
v_mfma_f32_32x32x4bf16 a[32+0:47+0], v[vgprValuA_X0_I0+0+0+0], v[vgprValuB_X0_I0+1+0+0], a[32:47]
/* numPrefetchIter=0 */
/* dataAtIterA=-1 numReadsIterA=1 skipReadsIterA=1 readsPerIterA=2 */
/* dataAtIterB=-1 numReadsIterB=1 skipReadsIterB=1 readsPerIterB=2 */


/* iter 1 */

/*  grEndMfmaIndex:3, lwStartMfmaIndex:25, lwEndMfmaIndex:28  */
/*  numMfmaForLR:1, barrierMfmaIndex:30 */
/*  mfmaIndex:4  */
_ds_load_b32 v[vgprValuA_X0_I0+0], v[vgprLocalReadAddrA] offset:16 // L -> Reg lro=8 swapByteOffset=0 ti=128 vIdx=0 rIdx=0 oIdx=0 buffer=0 iui=0
_ds_load_b32 v[vgprValuB_X0_I0+0], v[vgprLocalReadAddrB] offset:16 // L -> Reg lro=8 swapByteOffset=0 ti=128 vIdx=0 rIdx=0 oIdx=0 buffer=0 iui=0
_ds_load_b32 v[vgprValuA_X0_I0+1], v[vgprLocalReadAddrA] offset:80 // L -> Reg lro=8 swapByteOffset=0 ti=128 vIdx=0 rIdx=0 oIdx=0 buffer=0 iui=0
_ds_load_b32 v[vgprValuB_X0_I0+1], v[vgprLocalReadAddrB] offset:80 // L -> Reg lro=8 swapByteOffset=0 ti=128 vIdx=0 rIdx=0 oIdx=0 buffer=0 iui=0
/* localReadsVacancy: latencyLeft 5 */

/* global read inc A loopL */
s_cmp_eq_u32 s[sgprLoopCounterL], s[sgprStaggerUIter] // Is this the wrapIter?
s_cselect_b32 s60, s[sgprWrapUA+0], s[sgprGlobalReadIncsA+0] // incLower <- ?
s_cselect_b32 s61, s[sgprWrapUA+1], 0              // incUpper <- ?
s_add_u32 s[sgprSrdA+0], s[sgprSrdA+0], s60        // gra SRD += inc(lower)
s_addc_u32  s[sgprSrdA+1], s[sgprSrdA+1], s61      // gra SRD += inc(upper)
s_sub_u32 s[sgprShadowLimitA+0], s[sgprShadowLimitA+0], s60 // limit -= inc)
s_subb_u32 s[sgprShadowLimitA+1], s[sgprShadowLimitA+1], s61 // limit -= inc)
s_waitcnt lgkmcnt(4)                               // lgkmcnt=0 vmcnt=-1wait for prior local read local write old=0, new=4 newLW=0 newLR=4
v_mfma_f32_32x32x4bf16 a[0+0:15+0], v[vgprValuA_X1_I0+0+0+0], v[vgprValuB_X1_I0+0+0+0], a[0:15]
/*  mfmaIndex:5  */
/* localReadsVacancy: latencyLeft 13 */
s_cmp_eq_u32 s[sgprShadowLimitA+1], 0              // are we within 2^32?
s_cselect_b32 s[sgprSrdA+2], s[sgprShadowLimitA+0], BufferLimitA // Move shadow to real if we are within 2^32

/* global read inc B loopL */
s_cmp_eq_u32 s[sgprLoopCounterL], s[sgprStaggerUIter] // Is this the wrapIter?
s_cselect_b32 s60, s[sgprWrapUB+0], s[sgprGlobalReadIncsB+0] // incLower <- ?
s_cselect_b32 s61, s[sgprWrapUB+1], 0              // incUpper <- ?
s_add_u32 s[sgprSrdB+0], s[sgprSrdB+0], s60        // gra SRD += inc(lower)
s_addc_u32  s[sgprSrdB+1], s[sgprSrdB+1], s61      // gra SRD += inc(upper)
v_mfma_f32_32x32x4bf16 a[16+0:31+0], v[vgprValuA_X1_I0+1+0+0], v[vgprValuB_X1_I0+0+0+0], a[16:31]
/*  mfmaIndex:6  */
/* localReadsVacancy: latencyLeft 13 */
s_sub_u32 s[sgprShadowLimitB+0], s[sgprShadowLimitB+0], s60 // limit -= inc)
s_subb_u32 s[sgprShadowLimitB+1], s[sgprShadowLimitB+1], s61 // limit -= inc)
s_cmp_eq_u32 s[sgprShadowLimitB+1], 0              // are we within 2^32?
s_cselect_b32 s[sgprSrdB+2], s[sgprShadowLimitB+0], BufferLimitB // Move shadow to real if we are within 2^32
v_mfma_f32_32x32x4bf16 a[48+0:63+0], v[vgprValuA_X1_I0+1+0+0], v[vgprValuB_X1_I0+1+0+0], a[48:63]
/*  mfmaIndex:7  */
/* localReadsVacancy: latencyLeft 13 */
v_mfma_f32_32x32x4bf16 a[32+0:47+0], v[vgprValuA_X1_I0+0+0+0], v[vgprValuB_X1_I0+1+0+0], a[32:47]
/* numPrefetchIter=0 */
/* dataAtIterA=0 numReadsIterA=2 skipReadsIterA=1 readsPerIterA=2 */
/* dataAtIterB=0 numReadsIterB=2 skipReadsIterB=1 readsPerIterB=2 */


/* iter 2 */

/*  grEndMfmaIndex:3, lwStartMfmaIndex:25, lwEndMfmaIndex:28  */
/*  numMfmaForLR:1, barrierMfmaIndex:30 */
/*  mfmaIndex:8  */
_ds_load_b32 v[vgprValuA_X1_I0+0], v[vgprLocalReadAddrA] offset:24 // L -> Reg lro=12 swapByteOffset=0 ti=128 vIdx=0 rIdx=0 oIdx=0 buffer=1 iui=0
_ds_load_b32 v[vgprValuB_X1_I0+0], v[vgprLocalReadAddrB] offset:24 // L -> Reg lro=12 swapByteOffset=0 ti=128 vIdx=0 rIdx=0 oIdx=0 buffer=1 iui=0
_ds_load_b32 v[vgprValuA_X1_I0+1], v[vgprLocalReadAddrA] offset:88 // L -> Reg lro=12 swapByteOffset=0 ti=128 vIdx=0 rIdx=0 oIdx=0 buffer=1 iui=0
_ds_load_b32 v[vgprValuB_X1_I0+1], v[vgprLocalReadAddrB] offset:88 // L -> Reg lro=12 swapByteOffset=0 ti=128 vIdx=0 rIdx=0 oIdx=0 buffer=1 iui=0
/* localReadsVacancy: latencyLeft 5 */
s_waitcnt lgkmcnt(4)                               // lgkmcnt=0 vmcnt=-1wait for prior local read local write old=0, new=4 newLW=0 newLR=4
v_mfma_f32_32x32x4bf16 a[0+0:15+0], v[vgprValuA_X0_I0+0+0+0], v[vgprValuB_X0_I0+0+0+0], a[0:15]
/*  mfmaIndex:9  */
/* localReadsVacancy: latencyLeft 13 */
v_mfma_f32_32x32x4bf16 a[16+0:31+0], v[vgprValuA_X0_I0+1+0+0], v[vgprValuB_X0_I0+0+0+0], a[16:31]
/*  mfmaIndex:10  */
/* localReadsVacancy: latencyLeft 13 */
v_mfma_f32_32x32x4bf16 a[48+0:63+0], v[vgprValuA_X0_I0+1+0+0], v[vgprValuB_X0_I0+1+0+0], a[48:63]
/*  mfmaIndex:11  */
/* localReadsVacancy: latencyLeft 13 */
v_mfma_f32_32x32x4bf16 a[32+0:47+0], v[vgprValuA_X0_I0+0+0+0], v[vgprValuB_X0_I0+1+0+0], a[32:47]
/* numPrefetchIter=0 */
/* dataAtIterA=1 numReadsIterA=3 skipReadsIterA=1 readsPerIterA=2 */
/* dataAtIterB=1 numReadsIterB=3 skipReadsIterB=1 readsPerIterB=2 */


/* iter 3 */

/*  grEndMfmaIndex:3, lwStartMfmaIndex:25, lwEndMfmaIndex:28  */
/*  numMfmaForLR:1, barrierMfmaIndex:30 */
/*  mfmaIndex:12  */
_ds_load_b32 v[vgprValuA_X0_I0+0], v[vgprLocalReadAddrA] offset:32 // L -> Reg lro=16 swapByteOffset=0 ti=128 vIdx=0 rIdx=0 oIdx=0 buffer=0 iui=0
_ds_load_b32 v[vgprValuB_X0_I0+0], v[vgprLocalReadAddrB] offset:32 // L -> Reg lro=16 swapByteOffset=0 ti=128 vIdx=0 rIdx=0 oIdx=0 buffer=0 iui=0
_ds_load_b32 v[vgprValuA_X0_I0+1], v[vgprLocalReadAddrA] offset:96 // L -> Reg lro=16 swapByteOffset=0 ti=128 vIdx=0 rIdx=0 oIdx=0 buffer=0 iui=0
_ds_load_b32 v[vgprValuB_X0_I0+1], v[vgprLocalReadAddrB] offset:96 // L -> Reg lro=16 swapByteOffset=0 ti=128 vIdx=0 rIdx=0 oIdx=0 buffer=0 iui=0
/* localReadsVacancy: latencyLeft 5 */
s_waitcnt lgkmcnt(4)                               // lgkmcnt=0 vmcnt=-1wait for prior local read local write old=0, new=4 newLW=0 newLR=4
v_mfma_f32_32x32x4bf16 a[0+0:15+0], v[vgprValuA_X1_I0+0+0+0], v[vgprValuB_X1_I0+0+0+0], a[0:15]
/*  mfmaIndex:13  */
/* localReadsVacancy: latencyLeft 13 */
v_mfma_f32_32x32x4bf16 a[16+0:31+0], v[vgprValuA_X1_I0+1+0+0], v[vgprValuB_X1_I0+0+0+0], a[16:31]
/*  mfmaIndex:14  */
/* localReadsVacancy: latencyLeft 13 */
	;; [unrolled: 3-line block ×3, first 2 shown]
v_mfma_f32_32x32x4bf16 a[32+0:47+0], v[vgprValuA_X1_I0+0+0+0], v[vgprValuB_X1_I0+1+0+0], a[32:47]
/* numPrefetchIter=0 */
/* dataAtIterA=2 numReadsIterA=4 skipReadsIterA=1 readsPerIterA=2 */
/* dataAtIterB=2 numReadsIterB=4 skipReadsIterB=1 readsPerIterB=2 */


/* iter 4 */

/*  grEndMfmaIndex:3, lwStartMfmaIndex:25, lwEndMfmaIndex:28  */
/*  numMfmaForLR:1, barrierMfmaIndex:30 */
/*  mfmaIndex:16  */
_ds_load_b32 v[vgprValuA_X1_I0+0], v[vgprLocalReadAddrA] offset:40 // L -> Reg lro=20 swapByteOffset=0 ti=128 vIdx=0 rIdx=0 oIdx=0 buffer=1 iui=0
_ds_load_b32 v[vgprValuB_X1_I0+0], v[vgprLocalReadAddrB] offset:40 // L -> Reg lro=20 swapByteOffset=0 ti=128 vIdx=0 rIdx=0 oIdx=0 buffer=1 iui=0
_ds_load_b32 v[vgprValuA_X1_I0+1], v[vgprLocalReadAddrA] offset:104 // L -> Reg lro=20 swapByteOffset=0 ti=128 vIdx=0 rIdx=0 oIdx=0 buffer=1 iui=0
_ds_load_b32 v[vgprValuB_X1_I0+1], v[vgprLocalReadAddrB] offset:104 // L -> Reg lro=20 swapByteOffset=0 ti=128 vIdx=0 rIdx=0 oIdx=0 buffer=1 iui=0
/* localReadsVacancy: latencyLeft 5 */
s_waitcnt lgkmcnt(4)                               // lgkmcnt=0 vmcnt=-1wait for prior local read local write old=0, new=4 newLW=0 newLR=4
v_mfma_f32_32x32x4bf16 a[0+0:15+0], v[vgprValuA_X0_I0+0+0+0], v[vgprValuB_X0_I0+0+0+0], a[0:15]
/*  mfmaIndex:17  */
/* localReadsVacancy: latencyLeft 13 */
v_mfma_f32_32x32x4bf16 a[16+0:31+0], v[vgprValuA_X0_I0+1+0+0], v[vgprValuB_X0_I0+0+0+0], a[16:31]
/*  mfmaIndex:18  */
/* localReadsVacancy: latencyLeft 13 */
	;; [unrolled: 3-line block ×3, first 2 shown]
v_mfma_f32_32x32x4bf16 a[32+0:47+0], v[vgprValuA_X0_I0+0+0+0], v[vgprValuB_X0_I0+1+0+0], a[32:47]
/* numPrefetchIter=0 */
/* dataAtIterA=3 numReadsIterA=5 skipReadsIterA=1 readsPerIterA=2 */
/* dataAtIterB=3 numReadsIterB=5 skipReadsIterB=1 readsPerIterB=2 */


/* iter 5 */

/*  grEndMfmaIndex:3, lwStartMfmaIndex:25, lwEndMfmaIndex:28  */
/*  numMfmaForLR:1, barrierMfmaIndex:30 */
/*  mfmaIndex:20  */
_ds_load_b32 v[vgprValuA_X0_I0+0], v[vgprLocalReadAddrA] offset:48 // L -> Reg lro=24 swapByteOffset=0 ti=128 vIdx=0 rIdx=0 oIdx=0 buffer=0 iui=0
_ds_load_b32 v[vgprValuB_X0_I0+0], v[vgprLocalReadAddrB] offset:48 // L -> Reg lro=24 swapByteOffset=0 ti=128 vIdx=0 rIdx=0 oIdx=0 buffer=0 iui=0
_ds_load_b32 v[vgprValuA_X0_I0+1], v[vgprLocalReadAddrA] offset:112 // L -> Reg lro=24 swapByteOffset=0 ti=128 vIdx=0 rIdx=0 oIdx=0 buffer=0 iui=0
_ds_load_b32 v[vgprValuB_X0_I0+1], v[vgprLocalReadAddrB] offset:112 // L -> Reg lro=24 swapByteOffset=0 ti=128 vIdx=0 rIdx=0 oIdx=0 buffer=0 iui=0
/* localReadsVacancy: latencyLeft 5 */
s_waitcnt lgkmcnt(4)                               // lgkmcnt=0 vmcnt=-1wait for prior local read local write old=0, new=4 newLW=0 newLR=4
v_mfma_f32_32x32x4bf16 a[0+0:15+0], v[vgprValuA_X1_I0+0+0+0], v[vgprValuB_X1_I0+0+0+0], a[0:15]
/*  mfmaIndex:21  */
/* localReadsVacancy: latencyLeft 13 */
v_mfma_f32_32x32x4bf16 a[16+0:31+0], v[vgprValuA_X1_I0+1+0+0], v[vgprValuB_X1_I0+0+0+0], a[16:31]
/*  mfmaIndex:22  */
/* localReadsVacancy: latencyLeft 13 */
	;; [unrolled: 3-line block ×3, first 2 shown]
v_mfma_f32_32x32x4bf16 a[32+0:47+0], v[vgprValuA_X1_I0+0+0+0], v[vgprValuB_X1_I0+1+0+0], a[32:47]
/* numPrefetchIter=0 */
/* dataAtIterA=4 numReadsIterA=6 skipReadsIterA=1 readsPerIterA=2 */
/* dataAtIterB=4 numReadsIterB=6 skipReadsIterB=1 readsPerIterB=2 */


/* iter 6 (reset local read pointers iteration)  (swap local read pointers iteration)  */

/*  grEndMfmaIndex:3, lwStartMfmaIndex:25, lwEndMfmaIndex:28  */
/*  numMfmaForLR:1, barrierMfmaIndex:30 */
/*  mfmaIndex:24  */
_ds_load_b32 v[vgprValuA_X1_I0+0], v[vgprLocalReadAddrA] offset:56 // L -> Reg lro=28 swapByteOffset=0 ti=128 vIdx=0 rIdx=0 oIdx=0 buffer=1 iui=0
_ds_load_b32 v[vgprValuB_X1_I0+0], v[vgprLocalReadAddrB] offset:56 // L -> Reg lro=28 swapByteOffset=0 ti=128 vIdx=0 rIdx=0 oIdx=0 buffer=1 iui=0
_ds_load_b32 v[vgprValuA_X1_I0+1], v[vgprLocalReadAddrA] offset:120 // L -> Reg lro=28 swapByteOffset=0 ti=128 vIdx=0 rIdx=0 oIdx=0 buffer=1 iui=0
_ds_load_b32 v[vgprValuB_X1_I0+1], v[vgprLocalReadAddrB] offset:120 // L -> Reg lro=28 swapByteOffset=0 ti=128 vIdx=0 rIdx=0 oIdx=0 buffer=1 iui=0
/* localReadsVacancy: latencyLeft 5 */
s_waitcnt lgkmcnt(4)                               // lgkmcnt=0 vmcnt=-1wait for prior local read local write old=0, new=4 newLW=0 newLR=4
v_mfma_f32_32x32x4bf16 a[0+0:15+0], v[vgprValuA_X0_I0+0+0+0], v[vgprValuB_X0_I0+0+0+0], a[0:15]
/*  mfmaIndex:25  */
/* localReadsVacancy: latencyLeft 3 */
/* sched write - iter 6 writesPerItem=1 */
s_waitcnt vmcnt(0)                                 // lgkmcnt=-1 vmcnt=0wait for global read before writing to local
_ds_store_b128 v[vgprLocalWriteAddrA], v[vgprG2LA+0:vgprG2LA+0+3] offset:32768 // lwoA_0_0_0_0 = (0*LSCA)*(MT0I+PAD) + (0*LSPA) = 32768
v_mfma_f32_32x32x4bf16 a[16+0:31+0], v[vgprValuA_X0_I0+1+0+0], v[vgprValuB_X0_I0+0+0+0], a[16:31]
/*  mfmaIndex:26  */
/* localReadsVacancy: latencyLeft 3 */
/* sched write - iter 6 writesPerItem=1 */
s_waitcnt vmcnt(0)                                 // lgkmcnt=-1 vmcnt=0wait for global read before writing to local
_ds_store_b128 v[vgprLocalWriteAddrA], v[vgprG2LA+4:vgprG2LA+4+3] offset:37376 // lwoA_0_0_1_0 = (0*LSCA)*(MT0I+PAD) + (1*LSPA) = 37376
v_mfma_f32_32x32x4bf16 a[48+0:63+0], v[vgprValuA_X0_I0+1+0+0], v[vgprValuB_X0_I0+1+0+0], a[48:63]
/*  mfmaIndex:27  */
/* localReadsVacancy: latencyLeft 3 */
/* sched write - iter 6 writesPerItem=1 */
s_waitcnt vmcnt(0)                                 // lgkmcnt=-1 vmcnt=0wait for global read before writing to local
_ds_store_b128 v[vgprLocalWriteAddrB], v[vgprG2LB+0:vgprG2LB+0+3] offset:32768 // lwoB_0_0_0_0 = (0*LSCB)*(MT1J+PAD) + (0*LSPB) = 32768

/* local read swap offsets a */

/* local read swap internal offset -> 32768 */

/* local read swap offsets b */

/* local read swap internal offset -> 32768 */

/* local read init pointers a */

/* localReadInitPointers */

/* local read init pointers b */

/* localReadInitPointers */
v_mfma_f32_32x32x4bf16 a[32+0:47+0], v[vgprValuA_X0_I0+0+0+0], v[vgprValuB_X0_I0+1+0+0], a[32:47]
/* numPrefetchIter=0 */
/* dataAtIterA=5 numReadsIterA=7 skipReadsIterA=1 readsPerIterA=2 */
/* dataAtIterB=5 numReadsIterB=7 skipReadsIterB=1 readsPerIterB=2 */


/* iter 7 (swap and reset local write pointers iteration)  */

/*  grEndMfmaIndex:3, lwStartMfmaIndex:25, lwEndMfmaIndex:28  */
/*  numMfmaForLR:1, barrierMfmaIndex:30 */
/*  mfmaIndex:28  */
/* sched write - iter 7 writesPerItem=1 */
s_waitcnt vmcnt(0)                                 // lgkmcnt=-1 vmcnt=0wait for global read before writing to local
_ds_store_b128 v[vgprLocalWriteAddrB], v[vgprG2LB+4:vgprG2LB+4+3] offset:37376 // lwoB_0_0_1_0 = (0*LSCB)*(MT1J+PAD) + (1*LSPB) = 37376

/* local write swap offsets a */

/* (EPS=1) local write swap internal offset -> 0 */

/* local write swap offsets b */

/* (EPS=1) local write swap internal offset -> 0 */
s_waitcnt lgkmcnt(4)                               // lgkmcnt=0 vmcnt=-1wait for prior local read local write old=0, new=4 newLW=4 newLR=0
v_mfma_f32_32x32x4bf16 a[0+0:15+0], v[vgprValuA_X1_I0+0+0+0], v[vgprValuB_X1_I0+0+0+0], a[0:15]
/*  mfmaIndex:29  */
v_mfma_f32_32x32x4bf16 a[16+0:31+0], v[vgprValuA_X1_I0+1+0+0], v[vgprValuB_X1_I0+0+0+0], a[16:31]
/*  mfmaIndex:30  */
s_waitcnt lgkmcnt(0)                               // lgkmcnt=0 vmcnt=-13wait for local write
s_waitcnt lgkmcnt(0) & vmcnt(0)                    // force waitcnt0
s_barrier //
v_mfma_f32_32x32x4bf16 a[48+0:63+0], v[vgprValuA_X1_I0+1+0+0], v[vgprValuB_X1_I0+1+0+0], a[48:63]
/*  mfmaIndex:31  */
_ds_load_b32 v[vgprValuA_X0_I0+0], v[vgprLocalReadAddrA] offset:32768 // L -> Reg lro=0 swapByteOffset=32768 ti=128 vIdx=0 rIdx=0 oIdx=0 buffer=0 iui=0
_ds_load_b32 v[vgprValuB_X0_I0+0], v[vgprLocalReadAddrB] offset:32768 // L -> Reg lro=0 swapByteOffset=32768 ti=128 vIdx=0 rIdx=0 oIdx=0 buffer=0 iui=0
_ds_load_b32 v[vgprValuA_X0_I0+1], v[vgprLocalReadAddrA] offset:32832 // L -> Reg lro=0 swapByteOffset=32768 ti=128 vIdx=0 rIdx=0 oIdx=0 buffer=0 iui=0
_ds_load_b32 v[vgprValuB_X0_I0+1], v[vgprLocalReadAddrB] offset:32832 // L -> Reg lro=0 swapByteOffset=32768 ti=128 vIdx=0 rIdx=0 oIdx=0 buffer=0 iui=0
v_mfma_f32_32x32x4bf16 a[32+0:47+0], v[vgprValuA_X1_I0+0+0+0], v[vgprValuB_X1_I0+1+0+0], a[32:47]
/* numPrefetchIter=1 */
/* dataAtIterA=6 numReadsIterA=7 skipReadsIterA=1 readsPerIterA=2 */
/* dataAtIterB=6 numReadsIterB=7 skipReadsIterB=1 readsPerIterB=2 */


/******************************************/
/* Unrolled Loop - End 1/2                */
/******************************************/


/* closeLoop loopL finalLoop=0 tailLoop=0 */
s_sub_u32 s[sgprLoopCounterL], s[sgprLoopCounterL], 1 // dec counterL
s_cmp_eq_i32 s[sgprLoopCounterL], 0x1              // counterL==1
s_cbranch_scc1 LoopEndL_oddexit_3                  // exit LoopL


/******************************************/
/* Unrolled Loop 2/2 - Begin              */
/******************************************/

label_0014: // LoopCopy2 


/* Begin Each Unroll: Check VGPR.checkin for INT8 LW */


	;; [unrolled: 1-line block ×3, first 2 shown]
/* iter 0 */

/*  grEndMfmaIndex:3, lwStartMfmaIndex:25, lwEndMfmaIndex:28  */
/*  numMfmaForLR:1, barrierMfmaIndex:30 */
/*  mfmaIndex:0  */
_buffer_load_b128 v[vgprG2LA+0:vgprG2LA+0+3], v[vgprGlobalReadOffsetA+0], s[sgprSrdA:sgprSrdA+3], 0, offen offset:0 // G -> Reg 0_0_0_0
s_waitcnt lgkmcnt(0)                               // lgkmcnt=0 vmcnt=-1wait for prior local read local write old=0, new=0 newLW=0 newLR=0
v_mfma_f32_32x32x4bf16 a[0+0:15+0], v[vgprValuA_X0_I0+0+0+0], v[vgprValuB_X0_I0+0+0+0], a[0:15]
/*  mfmaIndex:1  */
_ds_load_b32 v[vgprValuA_X1_I0+0], v[vgprLocalReadAddrA] offset:32776 // L -> Reg lro=4 swapByteOffset=32768 ti=128 vIdx=0 rIdx=0 oIdx=0 buffer=1 iui=0
_ds_load_b32 v[vgprValuB_X1_I0+0], v[vgprLocalReadAddrB] offset:32776 // L -> Reg lro=4 swapByteOffset=32768 ti=128 vIdx=0 rIdx=0 oIdx=0 buffer=1 iui=0
_ds_load_b32 v[vgprValuA_X1_I0+1], v[vgprLocalReadAddrA] offset:32840 // L -> Reg lro=4 swapByteOffset=32768 ti=128 vIdx=0 rIdx=0 oIdx=0 buffer=1 iui=0
_ds_load_b32 v[vgprValuB_X1_I0+1], v[vgprLocalReadAddrB] offset:32840 // L -> Reg lro=4 swapByteOffset=32768 ti=128 vIdx=0 rIdx=0 oIdx=0 buffer=1 iui=0
/* localReadsVacancy: latencyLeft 5 */
_buffer_load_b128 v[vgprG2LA+4:vgprG2LA+4+3], v[vgprGlobalReadOffsetA+0], s[sgprSrdA:sgprSrdA+3], s[sgprScalarGlobalReadOffsetA+0], offen offset:0 // G -> Reg 0_0_1_0
v_mfma_f32_32x32x4bf16 a[16+0:31+0], v[vgprValuA_X0_I0+1+0+0], v[vgprValuB_X0_I0+0+0+0], a[16:31]
/*  mfmaIndex:2  */
/* localReadsVacancy: latencyLeft 13 */
_buffer_load_b128 v[vgprG2LB+0:vgprG2LB+0+3], v[vgprGlobalReadOffsetB+0], s[sgprSrdB:sgprSrdB+3], 0, offen offset:0 // G -> Reg 0_0_0_0
v_mfma_f32_32x32x4bf16 a[48+0:63+0], v[vgprValuA_X0_I0+1+0+0], v[vgprValuB_X0_I0+1+0+0], a[48:63]
/*  mfmaIndex:3  */
/* localReadsVacancy: latencyLeft 13 */
_buffer_load_b128 v[vgprG2LB+4:vgprG2LB+4+3], v[vgprGlobalReadOffsetB+0], s[sgprSrdB:sgprSrdB+3], s[sgprScalarGlobalReadOffsetB+0], offen offset:0 // G -> Reg 0_0_1_0
v_mfma_f32_32x32x4bf16 a[32+0:47+0], v[vgprValuA_X0_I0+0+0+0], v[vgprValuB_X0_I0+1+0+0], a[32:47]
/* numPrefetchIter=0 */
/* dataAtIterA=-1 numReadsIterA=1 skipReadsIterA=1 readsPerIterA=2 */
/* dataAtIterB=-1 numReadsIterB=1 skipReadsIterB=1 readsPerIterB=2 */


/* iter 1 */

/*  grEndMfmaIndex:3, lwStartMfmaIndex:25, lwEndMfmaIndex:28  */
/*  numMfmaForLR:1, barrierMfmaIndex:30 */
/*  mfmaIndex:4  */
_ds_load_b32 v[vgprValuA_X0_I0+0], v[vgprLocalReadAddrA] offset:32784 // L -> Reg lro=8 swapByteOffset=32768 ti=128 vIdx=0 rIdx=0 oIdx=0 buffer=0 iui=0
_ds_load_b32 v[vgprValuB_X0_I0+0], v[vgprLocalReadAddrB] offset:32784 // L -> Reg lro=8 swapByteOffset=32768 ti=128 vIdx=0 rIdx=0 oIdx=0 buffer=0 iui=0
_ds_load_b32 v[vgprValuA_X0_I0+1], v[vgprLocalReadAddrA] offset:32848 // L -> Reg lro=8 swapByteOffset=32768 ti=128 vIdx=0 rIdx=0 oIdx=0 buffer=0 iui=0
_ds_load_b32 v[vgprValuB_X0_I0+1], v[vgprLocalReadAddrB] offset:32848 // L -> Reg lro=8 swapByteOffset=32768 ti=128 vIdx=0 rIdx=0 oIdx=0 buffer=0 iui=0
/* localReadsVacancy: latencyLeft 5 */

/* global read inc A loopL */
s_cmp_eq_u32 s[sgprLoopCounterL], s[sgprStaggerUIter] // Is this the wrapIter?
s_cselect_b32 s60, s[sgprWrapUA+0], s[sgprGlobalReadIncsA+0] // incLower <- ?
s_cselect_b32 s61, s[sgprWrapUA+1], 0              // incUpper <- ?
s_add_u32 s[sgprSrdA+0], s[sgprSrdA+0], s60        // gra SRD += inc(lower)
s_addc_u32  s[sgprSrdA+1], s[sgprSrdA+1], s61      // gra SRD += inc(upper)
s_sub_u32 s[sgprShadowLimitA+0], s[sgprShadowLimitA+0], s60 // limit -= inc)
s_subb_u32 s[sgprShadowLimitA+1], s[sgprShadowLimitA+1], s61 // limit -= inc)
s_waitcnt lgkmcnt(4)                               // lgkmcnt=0 vmcnt=-1wait for prior local read local write old=0, new=4 newLW=0 newLR=4
v_mfma_f32_32x32x4bf16 a[0+0:15+0], v[vgprValuA_X1_I0+0+0+0], v[vgprValuB_X1_I0+0+0+0], a[0:15]
/*  mfmaIndex:5  */
/* localReadsVacancy: latencyLeft 13 */
s_cmp_eq_u32 s[sgprShadowLimitA+1], 0              // are we within 2^32?
s_cselect_b32 s[sgprSrdA+2], s[sgprShadowLimitA+0], BufferLimitA // Move shadow to real if we are within 2^32

/* global read inc B loopL */
s_cmp_eq_u32 s[sgprLoopCounterL], s[sgprStaggerUIter] // Is this the wrapIter?
s_cselect_b32 s60, s[sgprWrapUB+0], s[sgprGlobalReadIncsB+0] // incLower <- ?
s_cselect_b32 s61, s[sgprWrapUB+1], 0              // incUpper <- ?
s_add_u32 s[sgprSrdB+0], s[sgprSrdB+0], s60        // gra SRD += inc(lower)
s_addc_u32  s[sgprSrdB+1], s[sgprSrdB+1], s61      // gra SRD += inc(upper)
v_mfma_f32_32x32x4bf16 a[16+0:31+0], v[vgprValuA_X1_I0+1+0+0], v[vgprValuB_X1_I0+0+0+0], a[16:31]
/*  mfmaIndex:6  */
/* localReadsVacancy: latencyLeft 13 */
s_sub_u32 s[sgprShadowLimitB+0], s[sgprShadowLimitB+0], s60 // limit -= inc)
s_subb_u32 s[sgprShadowLimitB+1], s[sgprShadowLimitB+1], s61 // limit -= inc)
s_cmp_eq_u32 s[sgprShadowLimitB+1], 0              // are we within 2^32?
s_cselect_b32 s[sgprSrdB+2], s[sgprShadowLimitB+0], BufferLimitB // Move shadow to real if we are within 2^32
v_mfma_f32_32x32x4bf16 a[48+0:63+0], v[vgprValuA_X1_I0+1+0+0], v[vgprValuB_X1_I0+1+0+0], a[48:63]
/*  mfmaIndex:7  */
/* localReadsVacancy: latencyLeft 13 */
v_mfma_f32_32x32x4bf16 a[32+0:47+0], v[vgprValuA_X1_I0+0+0+0], v[vgprValuB_X1_I0+1+0+0], a[32:47]
/* numPrefetchIter=0 */
/* dataAtIterA=0 numReadsIterA=2 skipReadsIterA=1 readsPerIterA=2 */
/* dataAtIterB=0 numReadsIterB=2 skipReadsIterB=1 readsPerIterB=2 */


/* iter 2 */

/*  grEndMfmaIndex:3, lwStartMfmaIndex:25, lwEndMfmaIndex:28  */
/*  numMfmaForLR:1, barrierMfmaIndex:30 */
/*  mfmaIndex:8  */
_ds_load_b32 v[vgprValuA_X1_I0+0], v[vgprLocalReadAddrA] offset:32792 // L -> Reg lro=12 swapByteOffset=32768 ti=128 vIdx=0 rIdx=0 oIdx=0 buffer=1 iui=0
_ds_load_b32 v[vgprValuB_X1_I0+0], v[vgprLocalReadAddrB] offset:32792 // L -> Reg lro=12 swapByteOffset=32768 ti=128 vIdx=0 rIdx=0 oIdx=0 buffer=1 iui=0
_ds_load_b32 v[vgprValuA_X1_I0+1], v[vgprLocalReadAddrA] offset:32856 // L -> Reg lro=12 swapByteOffset=32768 ti=128 vIdx=0 rIdx=0 oIdx=0 buffer=1 iui=0
_ds_load_b32 v[vgprValuB_X1_I0+1], v[vgprLocalReadAddrB] offset:32856 // L -> Reg lro=12 swapByteOffset=32768 ti=128 vIdx=0 rIdx=0 oIdx=0 buffer=1 iui=0
/* localReadsVacancy: latencyLeft 5 */
s_waitcnt lgkmcnt(4)                               // lgkmcnt=0 vmcnt=-1wait for prior local read local write old=0, new=4 newLW=0 newLR=4
v_mfma_f32_32x32x4bf16 a[0+0:15+0], v[vgprValuA_X0_I0+0+0+0], v[vgprValuB_X0_I0+0+0+0], a[0:15]
/*  mfmaIndex:9  */
/* localReadsVacancy: latencyLeft 13 */
v_mfma_f32_32x32x4bf16 a[16+0:31+0], v[vgprValuA_X0_I0+1+0+0], v[vgprValuB_X0_I0+0+0+0], a[16:31]
/*  mfmaIndex:10  */
/* localReadsVacancy: latencyLeft 13 */
	;; [unrolled: 3-line block ×3, first 2 shown]
v_mfma_f32_32x32x4bf16 a[32+0:47+0], v[vgprValuA_X0_I0+0+0+0], v[vgprValuB_X0_I0+1+0+0], a[32:47]
/* numPrefetchIter=0 */
/* dataAtIterA=1 numReadsIterA=3 skipReadsIterA=1 readsPerIterA=2 */
/* dataAtIterB=1 numReadsIterB=3 skipReadsIterB=1 readsPerIterB=2 */


/* iter 3 */

/*  grEndMfmaIndex:3, lwStartMfmaIndex:25, lwEndMfmaIndex:28  */
/*  numMfmaForLR:1, barrierMfmaIndex:30 */
/*  mfmaIndex:12  */
_ds_load_b32 v[vgprValuA_X0_I0+0], v[vgprLocalReadAddrA] offset:32800 // L -> Reg lro=16 swapByteOffset=32768 ti=128 vIdx=0 rIdx=0 oIdx=0 buffer=0 iui=0
_ds_load_b32 v[vgprValuB_X0_I0+0], v[vgprLocalReadAddrB] offset:32800 // L -> Reg lro=16 swapByteOffset=32768 ti=128 vIdx=0 rIdx=0 oIdx=0 buffer=0 iui=0
_ds_load_b32 v[vgprValuA_X0_I0+1], v[vgprLocalReadAddrA] offset:32864 // L -> Reg lro=16 swapByteOffset=32768 ti=128 vIdx=0 rIdx=0 oIdx=0 buffer=0 iui=0
_ds_load_b32 v[vgprValuB_X0_I0+1], v[vgprLocalReadAddrB] offset:32864 // L -> Reg lro=16 swapByteOffset=32768 ti=128 vIdx=0 rIdx=0 oIdx=0 buffer=0 iui=0
/* localReadsVacancy: latencyLeft 5 */
s_waitcnt lgkmcnt(4)                               // lgkmcnt=0 vmcnt=-1wait for prior local read local write old=0, new=4 newLW=0 newLR=4
v_mfma_f32_32x32x4bf16 a[0+0:15+0], v[vgprValuA_X1_I0+0+0+0], v[vgprValuB_X1_I0+0+0+0], a[0:15]
/*  mfmaIndex:13  */
/* localReadsVacancy: latencyLeft 13 */
v_mfma_f32_32x32x4bf16 a[16+0:31+0], v[vgprValuA_X1_I0+1+0+0], v[vgprValuB_X1_I0+0+0+0], a[16:31]
/*  mfmaIndex:14  */
/* localReadsVacancy: latencyLeft 13 */
	;; [unrolled: 3-line block ×3, first 2 shown]
v_mfma_f32_32x32x4bf16 a[32+0:47+0], v[vgprValuA_X1_I0+0+0+0], v[vgprValuB_X1_I0+1+0+0], a[32:47]
/* numPrefetchIter=0 */
/* dataAtIterA=2 numReadsIterA=4 skipReadsIterA=1 readsPerIterA=2 */
/* dataAtIterB=2 numReadsIterB=4 skipReadsIterB=1 readsPerIterB=2 */


/* iter 4 */

/*  grEndMfmaIndex:3, lwStartMfmaIndex:25, lwEndMfmaIndex:28  */
/*  numMfmaForLR:1, barrierMfmaIndex:30 */
/*  mfmaIndex:16  */
_ds_load_b32 v[vgprValuA_X1_I0+0], v[vgprLocalReadAddrA] offset:32808 // L -> Reg lro=20 swapByteOffset=32768 ti=128 vIdx=0 rIdx=0 oIdx=0 buffer=1 iui=0
_ds_load_b32 v[vgprValuB_X1_I0+0], v[vgprLocalReadAddrB] offset:32808 // L -> Reg lro=20 swapByteOffset=32768 ti=128 vIdx=0 rIdx=0 oIdx=0 buffer=1 iui=0
_ds_load_b32 v[vgprValuA_X1_I0+1], v[vgprLocalReadAddrA] offset:32872 // L -> Reg lro=20 swapByteOffset=32768 ti=128 vIdx=0 rIdx=0 oIdx=0 buffer=1 iui=0
_ds_load_b32 v[vgprValuB_X1_I0+1], v[vgprLocalReadAddrB] offset:32872 // L -> Reg lro=20 swapByteOffset=32768 ti=128 vIdx=0 rIdx=0 oIdx=0 buffer=1 iui=0
/* localReadsVacancy: latencyLeft 5 */
s_waitcnt lgkmcnt(4)                               // lgkmcnt=0 vmcnt=-1wait for prior local read local write old=0, new=4 newLW=0 newLR=4
v_mfma_f32_32x32x4bf16 a[0+0:15+0], v[vgprValuA_X0_I0+0+0+0], v[vgprValuB_X0_I0+0+0+0], a[0:15]
/*  mfmaIndex:17  */
/* localReadsVacancy: latencyLeft 13 */
v_mfma_f32_32x32x4bf16 a[16+0:31+0], v[vgprValuA_X0_I0+1+0+0], v[vgprValuB_X0_I0+0+0+0], a[16:31]
/*  mfmaIndex:18  */
/* localReadsVacancy: latencyLeft 13 */
	;; [unrolled: 3-line block ×3, first 2 shown]
v_mfma_f32_32x32x4bf16 a[32+0:47+0], v[vgprValuA_X0_I0+0+0+0], v[vgprValuB_X0_I0+1+0+0], a[32:47]
/* numPrefetchIter=0 */
/* dataAtIterA=3 numReadsIterA=5 skipReadsIterA=1 readsPerIterA=2 */
/* dataAtIterB=3 numReadsIterB=5 skipReadsIterB=1 readsPerIterB=2 */


/* iter 5 */

/*  grEndMfmaIndex:3, lwStartMfmaIndex:25, lwEndMfmaIndex:28  */
/*  numMfmaForLR:1, barrierMfmaIndex:30 */
/*  mfmaIndex:20  */
_ds_load_b32 v[vgprValuA_X0_I0+0], v[vgprLocalReadAddrA] offset:32816 // L -> Reg lro=24 swapByteOffset=32768 ti=128 vIdx=0 rIdx=0 oIdx=0 buffer=0 iui=0
_ds_load_b32 v[vgprValuB_X0_I0+0], v[vgprLocalReadAddrB] offset:32816 // L -> Reg lro=24 swapByteOffset=32768 ti=128 vIdx=0 rIdx=0 oIdx=0 buffer=0 iui=0
_ds_load_b32 v[vgprValuA_X0_I0+1], v[vgprLocalReadAddrA] offset:32880 // L -> Reg lro=24 swapByteOffset=32768 ti=128 vIdx=0 rIdx=0 oIdx=0 buffer=0 iui=0
_ds_load_b32 v[vgprValuB_X0_I0+1], v[vgprLocalReadAddrB] offset:32880 // L -> Reg lro=24 swapByteOffset=32768 ti=128 vIdx=0 rIdx=0 oIdx=0 buffer=0 iui=0
/* localReadsVacancy: latencyLeft 5 */
s_waitcnt lgkmcnt(4)                               // lgkmcnt=0 vmcnt=-1wait for prior local read local write old=0, new=4 newLW=0 newLR=4
v_mfma_f32_32x32x4bf16 a[0+0:15+0], v[vgprValuA_X1_I0+0+0+0], v[vgprValuB_X1_I0+0+0+0], a[0:15]
/*  mfmaIndex:21  */
/* localReadsVacancy: latencyLeft 13 */
v_mfma_f32_32x32x4bf16 a[16+0:31+0], v[vgprValuA_X1_I0+1+0+0], v[vgprValuB_X1_I0+0+0+0], a[16:31]
/*  mfmaIndex:22  */
/* localReadsVacancy: latencyLeft 13 */
	;; [unrolled: 3-line block ×3, first 2 shown]
v_mfma_f32_32x32x4bf16 a[32+0:47+0], v[vgprValuA_X1_I0+0+0+0], v[vgprValuB_X1_I0+1+0+0], a[32:47]
/* numPrefetchIter=0 */
/* dataAtIterA=4 numReadsIterA=6 skipReadsIterA=1 readsPerIterA=2 */
/* dataAtIterB=4 numReadsIterB=6 skipReadsIterB=1 readsPerIterB=2 */


/* iter 6 (reset local read pointers iteration)  (swap local read pointers iteration)  */

/*  grEndMfmaIndex:3, lwStartMfmaIndex:25, lwEndMfmaIndex:28  */
/*  numMfmaForLR:1, barrierMfmaIndex:30 */
/*  mfmaIndex:24  */
_ds_load_b32 v[vgprValuA_X1_I0+0], v[vgprLocalReadAddrA] offset:32824 // L -> Reg lro=28 swapByteOffset=32768 ti=128 vIdx=0 rIdx=0 oIdx=0 buffer=1 iui=0
_ds_load_b32 v[vgprValuB_X1_I0+0], v[vgprLocalReadAddrB] offset:32824 // L -> Reg lro=28 swapByteOffset=32768 ti=128 vIdx=0 rIdx=0 oIdx=0 buffer=1 iui=0
_ds_load_b32 v[vgprValuA_X1_I0+1], v[vgprLocalReadAddrA] offset:32888 // L -> Reg lro=28 swapByteOffset=32768 ti=128 vIdx=0 rIdx=0 oIdx=0 buffer=1 iui=0
_ds_load_b32 v[vgprValuB_X1_I0+1], v[vgprLocalReadAddrB] offset:32888 // L -> Reg lro=28 swapByteOffset=32768 ti=128 vIdx=0 rIdx=0 oIdx=0 buffer=1 iui=0
/* localReadsVacancy: latencyLeft 5 */
s_waitcnt lgkmcnt(4)                               // lgkmcnt=0 vmcnt=-1wait for prior local read local write old=0, new=4 newLW=0 newLR=4
v_mfma_f32_32x32x4bf16 a[0+0:15+0], v[vgprValuA_X0_I0+0+0+0], v[vgprValuB_X0_I0+0+0+0], a[0:15]
/*  mfmaIndex:25  */
/* localReadsVacancy: latencyLeft 3 */
/* sched write - iter 6 writesPerItem=1 */
s_waitcnt vmcnt(0)                                 // lgkmcnt=-1 vmcnt=0wait for global read before writing to local
_ds_store_b128 v[vgprLocalWriteAddrA], v[vgprG2LA+0:vgprG2LA+0+3] offset:0 // lwoA_0_0_0_0 = (0*LSCA)*(MT0I+PAD) + (0*LSPA) = 0
v_mfma_f32_32x32x4bf16 a[16+0:31+0], v[vgprValuA_X0_I0+1+0+0], v[vgprValuB_X0_I0+0+0+0], a[16:31]
/*  mfmaIndex:26  */
/* localReadsVacancy: latencyLeft 3 */
/* sched write - iter 6 writesPerItem=1 */
s_waitcnt vmcnt(0)                                 // lgkmcnt=-1 vmcnt=0wait for global read before writing to local
_ds_store_b128 v[vgprLocalWriteAddrA], v[vgprG2LA+4:vgprG2LA+4+3] offset:4608 // lwoA_0_0_1_0 = (0*LSCA)*(MT0I+PAD) + (1*LSPA) = 4608
v_mfma_f32_32x32x4bf16 a[48+0:63+0], v[vgprValuA_X0_I0+1+0+0], v[vgprValuB_X0_I0+1+0+0], a[48:63]
/*  mfmaIndex:27  */
/* localReadsVacancy: latencyLeft 3 */
/* sched write - iter 6 writesPerItem=1 */
s_waitcnt vmcnt(0)                                 // lgkmcnt=-1 vmcnt=0wait for global read before writing to local
_ds_store_b128 v[vgprLocalWriteAddrB], v[vgprG2LB+0:vgprG2LB+0+3] offset:0 // lwoB_0_0_0_0 = (0*LSCB)*(MT1J+PAD) + (0*LSPB) = 0

/* local read swap offsets a */

/* local read swap internal offset -> 0 */

/* local read swap offsets b */

/* local read swap internal offset -> 0 */

/* local read init pointers a */

/* localReadInitPointers */

/* local read init pointers b */

/* localReadInitPointers */
v_mfma_f32_32x32x4bf16 a[32+0:47+0], v[vgprValuA_X0_I0+0+0+0], v[vgprValuB_X0_I0+1+0+0], a[32:47]
/* numPrefetchIter=0 */
/* dataAtIterA=5 numReadsIterA=7 skipReadsIterA=1 readsPerIterA=2 */
/* dataAtIterB=5 numReadsIterB=7 skipReadsIterB=1 readsPerIterB=2 */


/* iter 7 (swap and reset local write pointers iteration)  */

/*  grEndMfmaIndex:3, lwStartMfmaIndex:25, lwEndMfmaIndex:28  */
/*  numMfmaForLR:1, barrierMfmaIndex:30 */
/*  mfmaIndex:28  */
/* sched write - iter 7 writesPerItem=1 */
s_waitcnt vmcnt(0)                                 // lgkmcnt=-1 vmcnt=0wait for global read before writing to local
_ds_store_b128 v[vgprLocalWriteAddrB], v[vgprG2LB+4:vgprG2LB+4+3] offset:4608 // lwoB_0_0_1_0 = (0*LSCB)*(MT1J+PAD) + (1*LSPB) = 4608

/* local write swap offsets a */

/* (EPS=1) local write swap internal offset -> 32768 */

/* local write swap offsets b */

/* (EPS=1) local write swap internal offset -> 32768 */
s_waitcnt lgkmcnt(4)                               // lgkmcnt=0 vmcnt=-1wait for prior local read local write old=0, new=4 newLW=4 newLR=0
v_mfma_f32_32x32x4bf16 a[0+0:15+0], v[vgprValuA_X1_I0+0+0+0], v[vgprValuB_X1_I0+0+0+0], a[0:15]
/*  mfmaIndex:29  */
v_mfma_f32_32x32x4bf16 a[16+0:31+0], v[vgprValuA_X1_I0+1+0+0], v[vgprValuB_X1_I0+0+0+0], a[16:31]
/*  mfmaIndex:30  */
s_waitcnt lgkmcnt(0)                               // lgkmcnt=0 vmcnt=-13wait for local write
s_waitcnt lgkmcnt(0) & vmcnt(0)                    // force waitcnt0
s_barrier //
v_mfma_f32_32x32x4bf16 a[48+0:63+0], v[vgprValuA_X1_I0+1+0+0], v[vgprValuB_X1_I0+1+0+0], a[48:63]
/*  mfmaIndex:31  */
_ds_load_b32 v[vgprValuA_X0_I0+0], v[vgprLocalReadAddrA] offset:0 // L -> Reg lro=0 swapByteOffset=0 ti=128 vIdx=0 rIdx=0 oIdx=0 buffer=0 iui=0
_ds_load_b32 v[vgprValuB_X0_I0+0], v[vgprLocalReadAddrB] offset:0 // L -> Reg lro=0 swapByteOffset=0 ti=128 vIdx=0 rIdx=0 oIdx=0 buffer=0 iui=0
_ds_load_b32 v[vgprValuA_X0_I0+1], v[vgprLocalReadAddrA] offset:64 // L -> Reg lro=0 swapByteOffset=0 ti=128 vIdx=0 rIdx=0 oIdx=0 buffer=0 iui=0
_ds_load_b32 v[vgprValuB_X0_I0+1], v[vgprLocalReadAddrB] offset:64 // L -> Reg lro=0 swapByteOffset=0 ti=128 vIdx=0 rIdx=0 oIdx=0 buffer=0 iui=0
v_mfma_f32_32x32x4bf16 a[32+0:47+0], v[vgprValuA_X1_I0+0+0+0], v[vgprValuB_X1_I0+1+0+0], a[32:47]
/* numPrefetchIter=1 */
/* dataAtIterA=6 numReadsIterA=7 skipReadsIterA=1 readsPerIterA=2 */
/* dataAtIterB=6 numReadsIterB=7 skipReadsIterB=1 readsPerIterB=2 */


/******************************************/
/* Unrolled Loop - End 2/2 (final)        */
/******************************************/


/* closeLoop loopL finalLoop=1 tailLoop=0 */
s_sub_u32 s[sgprLoopCounterL], s[sgprLoopCounterL], 1 // dec counterL
s_cmp_eq_i32 s[sgprLoopCounterL], 0x1              // counterL==1
s_cbranch_scc0 LoopBeginL_1                        // restart LoopL
LoopEndL_evenexit_4: // unroll loop eveniter exit
s_branch LoopEndL_2                                // exit unroll loopL (and skip second exit code)
LoopEndL_oddexit_3: // unroll loop odditer exit

/* Select high bank of LDS */
v_xor_b32 v[vgprLocalReadAddrA], 0x8000, v[vgprLocalReadAddrA] // swap Red Blk
v_xor_b32 v[vgprLocalReadAddrB], 0x8000, v[vgprLocalReadAddrB] // swap Red Blk
LoopEndL_2:


/* Before NLL: Check VGPR.checkin for INT8 LW */


/******************************************/
/* Opt. NoLoadLoop Without PAP - Begin                                      */
/******************************************/

s_cmpk_eq_u32 s[sgprBeta], 0x0                     // Beta == 0
s_cbranch_scc0 OptNLL_End_15                       // Branch if Beta is not zero

s_cmp_eq_u32 s[sgprAlpha], 1.0                     // Alpha == 1.0 ?
s_cbranch_scc0 OptNLL_End_15                       // branch if alpha != 1

s_and_b32 s60, 127, s[sgprSizeI]                   // s60 = s[sgprSizeI] % 128
s_add_u32 s61, -0x1, s[sgprNumWorkGroups0]         // 
s_cmp_ge_u32 s[sgprWorkGroup0], s61                // wg0 >= nwg0-1 ?
s_cselect_b32 s60, s60, 0                          // set rMT0
s_cmpk_gt_u32 s60, 0x0                             // rMT0 > 0
s_cbranch_scc1 OptNLL_End_15                       // jump if edges required
s_and_b32 s60, 127, s[sgprSizeJ]                   // s60 = s[sgprSizeJ] % 128
s_add_u32 s61, -0x1, s[sgprNumWorkGroups1]         // 
s_cmp_ge_u32 s[sgprWorkGroup1], s61                // wg1 >= nwg1-1
s_cselect_b32 s60, s60, 0                          // set rMT1
s_cmpk_gt_u32 s60, 0x0                             // rMT1 > 0
s_cbranch_scc1 OptNLL_End_15                       // jump if edges required

s_and_b32 s61, 31, s[sgprSizesSum+0]               // s61 = s[sgprSizesSum+0] % 32
s_cmp_eq_u32 s61, 0x0                              // numIterL == 0
s_cbranch_scc0 OptNLL_End_15                       // skip if tail loop required


	;; [unrolled: 1-line block ×3, first 2 shown]
/* iter 0 (last unrolled loop) */

/*  grEndMfmaIndex:0, lwStartMfmaIndex:28, lwEndMfmaIndex:28  */
/*  numMfmaForLR:1, barrierMfmaIndex:30 */
/*  mfmaIndex:0  */
s_waitcnt lgkmcnt(0)                               // lgkmcnt=0 vmcnt=-1wait for prior local read local write old=0, new=0 newLW=0 newLR=0
v_mfma_f32_32x32x4bf16 a[0+0:15+0], v[vgprValuA_X0_I0+0+0+0], v[vgprValuB_X0_I0+0+0+0], a[0:15]
/*  mfmaIndex:1  */
_ds_load_b32 v[vgprValuA_X1_I0+0], v[vgprLocalReadAddrA] offset:8 // L -> Reg lro=4 swapByteOffset=0 ti=128 vIdx=0 rIdx=0 oIdx=0 buffer=1 iui=0
_ds_load_b32 v[vgprValuB_X1_I0+0], v[vgprLocalReadAddrB] offset:8 // L -> Reg lro=4 swapByteOffset=0 ti=128 vIdx=0 rIdx=0 oIdx=0 buffer=1 iui=0
_ds_load_b32 v[vgprValuA_X1_I0+1], v[vgprLocalReadAddrA] offset:72 // L -> Reg lro=4 swapByteOffset=0 ti=128 vIdx=0 rIdx=0 oIdx=0 buffer=1 iui=0
_ds_load_b32 v[vgprValuB_X1_I0+1], v[vgprLocalReadAddrB] offset:72 // L -> Reg lro=4 swapByteOffset=0 ti=128 vIdx=0 rIdx=0 oIdx=0 buffer=1 iui=0
/* localReadsVacancy: latencyLeft 5 */
v_mfma_f32_32x32x4bf16 a[16+0:31+0], v[vgprValuA_X0_I0+1+0+0], v[vgprValuB_X0_I0+0+0+0], a[16:31]
/*  mfmaIndex:2  */
/* localReadsVacancy: latencyLeft 13 */
v_mfma_f32_32x32x4bf16 a[48+0:63+0], v[vgprValuA_X0_I0+1+0+0], v[vgprValuB_X0_I0+1+0+0], a[48:63]
/*  mfmaIndex:3  */
/* localReadsVacancy: latencyLeft 13 */
v_mfma_f32_32x32x4bf16 a[32+0:47+0], v[vgprValuA_X0_I0+0+0+0], v[vgprValuB_X0_I0+1+0+0], a[32:47]
/* numPrefetchIter=0 */
/* dataAtIterA=-1 numReadsIterA=1 skipReadsIterA=1 readsPerIterA=2 */
/* dataAtIterB=-1 numReadsIterB=1 skipReadsIterB=1 readsPerIterB=2 */


/* iter 1 (last unrolled loop) */

/*  grEndMfmaIndex:0, lwStartMfmaIndex:28, lwEndMfmaIndex:28  */
/*  numMfmaForLR:1, barrierMfmaIndex:30 */
/*  mfmaIndex:4  */
_ds_load_b32 v[vgprValuA_X0_I0+0], v[vgprLocalReadAddrA] offset:16 // L -> Reg lro=8 swapByteOffset=0 ti=128 vIdx=0 rIdx=0 oIdx=0 buffer=0 iui=0
_ds_load_b32 v[vgprValuB_X0_I0+0], v[vgprLocalReadAddrB] offset:16 // L -> Reg lro=8 swapByteOffset=0 ti=128 vIdx=0 rIdx=0 oIdx=0 buffer=0 iui=0
_ds_load_b32 v[vgprValuA_X0_I0+1], v[vgprLocalReadAddrA] offset:80 // L -> Reg lro=8 swapByteOffset=0 ti=128 vIdx=0 rIdx=0 oIdx=0 buffer=0 iui=0
_ds_load_b32 v[vgprValuB_X0_I0+1], v[vgprLocalReadAddrB] offset:80 // L -> Reg lro=8 swapByteOffset=0 ti=128 vIdx=0 rIdx=0 oIdx=0 buffer=0 iui=0
/* localReadsVacancy: latencyLeft 5 */
s_waitcnt lgkmcnt(4)                               // lgkmcnt=0 vmcnt=-1wait for prior local read local write old=0, new=4 newLW=0 newLR=4
v_mfma_f32_32x32x4bf16 a[0+0:15+0], v[vgprValuA_X1_I0+0+0+0], v[vgprValuB_X1_I0+0+0+0], a[0:15]
/*  mfmaIndex:5  */
/* localReadsVacancy: latencyLeft 13 */
v_mfma_f32_32x32x4bf16 a[16+0:31+0], v[vgprValuA_X1_I0+1+0+0], v[vgprValuB_X1_I0+0+0+0], a[16:31]
/*  mfmaIndex:6  */
/* localReadsVacancy: latencyLeft 13 */
v_mfma_f32_32x32x4bf16 a[48+0:63+0], v[vgprValuA_X1_I0+1+0+0], v[vgprValuB_X1_I0+1+0+0], a[48:63]
/*  mfmaIndex:7  */
/* localReadsVacancy: latencyLeft 13 */
v_mfma_f32_32x32x4bf16 a[32+0:47+0], v[vgprValuA_X1_I0+0+0+0], v[vgprValuB_X1_I0+1+0+0], a[32:47]
/* numPrefetchIter=0 */
/* dataAtIterA=0 numReadsIterA=2 skipReadsIterA=1 readsPerIterA=2 */
/* dataAtIterB=0 numReadsIterB=2 skipReadsIterB=1 readsPerIterB=2 */


/* iter 2 (last unrolled loop) */

/*  grEndMfmaIndex:0, lwStartMfmaIndex:28, lwEndMfmaIndex:28  */
/*  numMfmaForLR:1, barrierMfmaIndex:30 */
/*  mfmaIndex:8  */
_ds_load_b32 v[vgprValuA_X1_I0+0], v[vgprLocalReadAddrA] offset:24 // L -> Reg lro=12 swapByteOffset=0 ti=128 vIdx=0 rIdx=0 oIdx=0 buffer=1 iui=0
_ds_load_b32 v[vgprValuB_X1_I0+0], v[vgprLocalReadAddrB] offset:24 // L -> Reg lro=12 swapByteOffset=0 ti=128 vIdx=0 rIdx=0 oIdx=0 buffer=1 iui=0
_ds_load_b32 v[vgprValuA_X1_I0+1], v[vgprLocalReadAddrA] offset:88 // L -> Reg lro=12 swapByteOffset=0 ti=128 vIdx=0 rIdx=0 oIdx=0 buffer=1 iui=0
_ds_load_b32 v[vgprValuB_X1_I0+1], v[vgprLocalReadAddrB] offset:88 // L -> Reg lro=12 swapByteOffset=0 ti=128 vIdx=0 rIdx=0 oIdx=0 buffer=1 iui=0
/* localReadsVacancy: latencyLeft 5 */
s_waitcnt lgkmcnt(4)                               // lgkmcnt=0 vmcnt=-1wait for prior local read local write old=0, new=4 newLW=0 newLR=4
v_mfma_f32_32x32x4bf16 a[0+0:15+0], v[vgprValuA_X0_I0+0+0+0], v[vgprValuB_X0_I0+0+0+0], a[0:15]
/*  mfmaIndex:9  */
/* localReadsVacancy: latencyLeft 13 */
v_mfma_f32_32x32x4bf16 a[16+0:31+0], v[vgprValuA_X0_I0+1+0+0], v[vgprValuB_X0_I0+0+0+0], a[16:31]
/*  mfmaIndex:10  */
/* localReadsVacancy: latencyLeft 13 */
v_mfma_f32_32x32x4bf16 a[48+0:63+0], v[vgprValuA_X0_I0+1+0+0], v[vgprValuB_X0_I0+1+0+0], a[48:63]
/*  mfmaIndex:11  */
/* localReadsVacancy: latencyLeft 13 */
v_mfma_f32_32x32x4bf16 a[32+0:47+0], v[vgprValuA_X0_I0+0+0+0], v[vgprValuB_X0_I0+1+0+0], a[32:47]
/* numPrefetchIter=0 */
/* dataAtIterA=1 numReadsIterA=3 skipReadsIterA=1 readsPerIterA=2 */
/* dataAtIterB=1 numReadsIterB=3 skipReadsIterB=1 readsPerIterB=2 */


/* iter 3 (last unrolled loop) */

/*  grEndMfmaIndex:0, lwStartMfmaIndex:28, lwEndMfmaIndex:28  */
/*  numMfmaForLR:1, barrierMfmaIndex:30 */
/*  mfmaIndex:12  */
_ds_load_b32 v[vgprValuA_X0_I0+0], v[vgprLocalReadAddrA] offset:32 // L -> Reg lro=16 swapByteOffset=0 ti=128 vIdx=0 rIdx=0 oIdx=0 buffer=0 iui=0
_ds_load_b32 v[vgprValuB_X0_I0+0], v[vgprLocalReadAddrB] offset:32 // L -> Reg lro=16 swapByteOffset=0 ti=128 vIdx=0 rIdx=0 oIdx=0 buffer=0 iui=0
_ds_load_b32 v[vgprValuA_X0_I0+1], v[vgprLocalReadAddrA] offset:96 // L -> Reg lro=16 swapByteOffset=0 ti=128 vIdx=0 rIdx=0 oIdx=0 buffer=0 iui=0
_ds_load_b32 v[vgprValuB_X0_I0+1], v[vgprLocalReadAddrB] offset:96 // L -> Reg lro=16 swapByteOffset=0 ti=128 vIdx=0 rIdx=0 oIdx=0 buffer=0 iui=0
/* localReadsVacancy: latencyLeft 5 */
s_waitcnt lgkmcnt(4)                               // lgkmcnt=0 vmcnt=-1wait for prior local read local write old=0, new=4 newLW=0 newLR=4
v_mfma_f32_32x32x4bf16 a[0+0:15+0], v[vgprValuA_X1_I0+0+0+0], v[vgprValuB_X1_I0+0+0+0], a[0:15]
/*  mfmaIndex:13  */
/* localReadsVacancy: latencyLeft 13 */
v_mfma_f32_32x32x4bf16 a[16+0:31+0], v[vgprValuA_X1_I0+1+0+0], v[vgprValuB_X1_I0+0+0+0], a[16:31]
/*  mfmaIndex:14  */
/* localReadsVacancy: latencyLeft 13 */
v_mfma_f32_32x32x4bf16 a[48+0:63+0], v[vgprValuA_X1_I0+1+0+0], v[vgprValuB_X1_I0+1+0+0], a[48:63]
/*  mfmaIndex:15  */
/* localReadsVacancy: latencyLeft 13 */
v_mfma_f32_32x32x4bf16 a[32+0:47+0], v[vgprValuA_X1_I0+0+0+0], v[vgprValuB_X1_I0+1+0+0], a[32:47]
/* numPrefetchIter=0 */
/* dataAtIterA=2 numReadsIterA=4 skipReadsIterA=1 readsPerIterA=2 */
/* dataAtIterB=2 numReadsIterB=4 skipReadsIterB=1 readsPerIterB=2 */


/* iter 4 (last unrolled loop) */

/*  grEndMfmaIndex:0, lwStartMfmaIndex:28, lwEndMfmaIndex:28  */
/*  numMfmaForLR:1, barrierMfmaIndex:30 */
/*  mfmaIndex:16  */
_ds_load_b32 v[vgprValuA_X1_I0+0], v[vgprLocalReadAddrA] offset:40 // L -> Reg lro=20 swapByteOffset=0 ti=128 vIdx=0 rIdx=0 oIdx=0 buffer=1 iui=0
_ds_load_b32 v[vgprValuB_X1_I0+0], v[vgprLocalReadAddrB] offset:40 // L -> Reg lro=20 swapByteOffset=0 ti=128 vIdx=0 rIdx=0 oIdx=0 buffer=1 iui=0
_ds_load_b32 v[vgprValuA_X1_I0+1], v[vgprLocalReadAddrA] offset:104 // L -> Reg lro=20 swapByteOffset=0 ti=128 vIdx=0 rIdx=0 oIdx=0 buffer=1 iui=0
_ds_load_b32 v[vgprValuB_X1_I0+1], v[vgprLocalReadAddrB] offset:104 // L -> Reg lro=20 swapByteOffset=0 ti=128 vIdx=0 rIdx=0 oIdx=0 buffer=1 iui=0
/* localReadsVacancy: latencyLeft 5 */
s_waitcnt lgkmcnt(4)                               // lgkmcnt=0 vmcnt=-1wait for prior local read local write old=0, new=4 newLW=0 newLR=4
v_mfma_f32_32x32x4bf16 a[0+0:15+0], v[vgprValuA_X0_I0+0+0+0], v[vgprValuB_X0_I0+0+0+0], a[0:15]
/*  mfmaIndex:17  */
/* localReadsVacancy: latencyLeft 13 */
v_mfma_f32_32x32x4bf16 a[16+0:31+0], v[vgprValuA_X0_I0+1+0+0], v[vgprValuB_X0_I0+0+0+0], a[16:31]
/*  mfmaIndex:18  */
/* localReadsVacancy: latencyLeft 13 */
v_mfma_f32_32x32x4bf16 a[48+0:63+0], v[vgprValuA_X0_I0+1+0+0], v[vgprValuB_X0_I0+1+0+0], a[48:63]
/*  mfmaIndex:19  */
/* localReadsVacancy: latencyLeft 13 */
v_mfma_f32_32x32x4bf16 a[32+0:47+0], v[vgprValuA_X0_I0+0+0+0], v[vgprValuB_X0_I0+1+0+0], a[32:47]
/* numPrefetchIter=0 */
/* dataAtIterA=3 numReadsIterA=5 skipReadsIterA=1 readsPerIterA=2 */
/* dataAtIterB=3 numReadsIterB=5 skipReadsIterB=1 readsPerIterB=2 */
	;; [unrolled: 52-line block ×3, first 2 shown]


/* iter 7 (last unrolled loop) */

/*  grEndMfmaIndex:0, lwStartMfmaIndex:28, lwEndMfmaIndex:28  */
/*  numMfmaForLR:1, barrierMfmaIndex:30 */
/*  mfmaIndex:28  */
s_waitcnt lgkmcnt(0)                               // lgkmcnt=0 vmcnt=-1wait for prior local read local write old=0, new=0 newLW=0 newLR=0
v_mfma_f32_32x32x4bf16 a[0+0:15+0], v[vgprValuA_X1_I0+0+0+0], v[vgprValuB_X1_I0+0+0+0], a[0:15]
/*  mfmaIndex:29  */
v_mfma_f32_32x32x4bf16 a[16+0:31+0], v[vgprValuA_X1_I0+1+0+0], v[vgprValuB_X1_I0+0+0+0], a[16:31]
/*  mfmaIndex:30  */
	;; [unrolled: 2-line block ×3, first 2 shown]
v_mfma_f32_32x32x4bf16 a[32+0:47+0], v[vgprValuA_X1_I0+0+0+0], v[vgprValuB_X1_I0+1+0+0], a[32:47]
/* numPrefetchIter=0 */
/* dataAtIterA=6 numReadsIterA=7 skipReadsIterA=0 readsPerIterA=2 */
/* dataAtIterB=6 numReadsIterB=7 skipReadsIterB=0 readsPerIterB=2 */

/* Stores for OptNLL */
Summation_End_OptNLL_16:
/* endSummation: add vgpr [0...28) to pool */
.set NumFullBlocks, UNDEF
.set WgmRemainder1, UNDEF
.set MagicNumberWgmRemainder1, UNDEF
.set ScalarGlobalReadOffsetA, UNDEF
.set ScalarGlobalReadOffsetB, UNDEF

/* Mapping of Acc register -> C Vgpr register */
/* computeStoreVgprs */
v_lshrrev_b32 v4, 6, v[vgprSerial]                 // v4 = v[vgprSerial] / 64
v_lshrrev_b32 v1, 1, v4                            // v1 = v4 / 2
v_mul_lo_u32 v1, 0x20, v1                          // wave coordination offset 1
v_and_b32 v5, 31, v[vgprSerial]                    // v5 = v[vgprSerial] % 32
_v_add_lshl_u32 v1, v5, v1, 1                      // coordination 1 = vwb *(wave_id1 + tid1)
v_mul_lo_u32 v2, v1, s[sgprStrideC1J]              //  offset 1
v_mul_lo_u32 v3, v1, s[sgprStrideD1J]              //  offset 1
v_and_b32 v0, 63, v[vgprSerial]                    // v0 = v[vgprSerial] % 64
v_lshrrev_b32 v0, 5, v0                            // v0 = v0 / 32
v_lshlrev_b32 v0, 0x2, v0                          // thread0 * continuous_output
v_and_b32 v5, 1, v4                                // v5 = v4 % 2
v_mul_lo_u32 v5, 0x20, v5                          // wave coordination offset 0
_v_add_lshl_u32 v0, v5, v0, 1                      // coordination 0 = vwa *(wave_id0 + tid0)
s_mul_i32 s53, 128, s[sgprWorkGroup0]              // wgp0 * MT0
_v_add_u32 v0, s53, v0                             // coord 0 = (tid0/MI_m)*4 + waveG0*MIB_m + MT0*SG0
s_mul_i32 s53, 128, s[sgprWorkGroup1]              // wgp1 * MT1
_v_add_u32 v1, s53, v1                             // coord 1 = (tid0%MI_m) + waveG1*MIB_n + MT1*SG1
GW_B0_E0_19:

/* edge=0, allocate 2 sgpr. perBatchTmpS=2 perBatchMaskS=0 perElementMaskS=0 elementsPerBatch=60 */
/* optSingleColVgpr=1 optSharedColVgpr=0 optSGPRUsage=BufferLoad_Mask optSrdIncForRow=1 */

/******************************************/
/* Global Write Batch #0 (d1,d0,vc1,vc0) = */
/*    (0,0,0,0:vw4); (0,0,0,4:vw4); (0,1,0,0:vw4); (0,1,0,4:vw4); (0,2,0,0:vw4); (0,2,0,4:vw4); (0,3,0,0:vw4); (0,3,0,4:vw4); (0,0,1,0:vw4); (0,0,1,4:vw4); (0,1,1,0:vw4); (0,1,1,4:vw4); (0,2,1,0:vw4); (0,2,1,4:vw4); (0,3,1,0:vw4); (0,3,1,4:vw4) */
/******************************************/

/* calc coords, apply mask, and issue loads (if necessary) */
/* (d1,vc1,d0,vc0)=(0,0,0,0) */
/* (d1,vc1,d0,vc0)=(0,0,0,4) */
	;; [unrolled: 1-line block ×16, first 2 shown]
_v_add_lshl_u32 v10, v3, v0, 0x1                   // optSingleColVgpr scaleToBpe: sharedAddrVgpr <- cinRowPtr + coord0, scaled by BPE. BSHERE:coord0=0, coord0Vgpr=0
v_accvgpr_read_b32 v[vgprValuC+12], acc0 // copy acc to vreg[0]
v_accvgpr_read_b32 v[vgprValuC+13], acc16 // copy acc to vreg[1]
v_accvgpr_read_b32 v[vgprValuC+14], acc1 // copy acc to vreg[2]
v_accvgpr_read_b32 v[vgprValuC+15], acc17 // copy acc to vreg[3]
v_accvgpr_read_b32 v[vgprValuC+16], acc2 // copy acc to vreg[4]
v_accvgpr_read_b32 v[vgprValuC+17], acc18 // copy acc to vreg[5]
v_accvgpr_read_b32 v[vgprValuC+18], acc3 // copy acc to vreg[6]
v_accvgpr_read_b32 v[vgprValuC+19], acc19 // copy acc to vreg[7]
v_accvgpr_read_b32 v[vgprValuC+20], acc4 // copy acc to vreg[8]
v_accvgpr_read_b32 v[vgprValuC+21], acc20 // copy acc to vreg[9]
v_accvgpr_read_b32 v[vgprValuC+22], acc5 // copy acc to vreg[10]
v_accvgpr_read_b32 v[vgprValuC+23], acc21 // copy acc to vreg[11]
v_accvgpr_read_b32 v[vgprValuC+24], acc6 // copy acc to vreg[12]
v_accvgpr_read_b32 v[vgprValuC+25], acc22 // copy acc to vreg[13]
v_accvgpr_read_b32 v[vgprValuC+26], acc7 // copy acc to vreg[14]
v_accvgpr_read_b32 v[vgprValuC+27], acc23 // copy acc to vreg[15]
v_accvgpr_read_b32 v[vgprValuC+32], acc8 // copy acc to vreg[16]
v_accvgpr_read_b32 v[vgprValuC+33], acc24 // copy acc to vreg[17]
v_accvgpr_read_b32 v[vgprValuC+34], acc9 // copy acc to vreg[18]
v_accvgpr_read_b32 v[vgprValuC+35], acc25 // copy acc to vreg[19]
v_accvgpr_read_b32 v[vgprValuC+36], acc10 // copy acc to vreg[20]
v_accvgpr_read_b32 v[vgprValuC+37], acc26 // copy acc to vreg[21]
v_accvgpr_read_b32 v[vgprValuC+38], acc11 // copy acc to vreg[22]
v_accvgpr_read_b32 v[vgprValuC+39], acc27 // copy acc to vreg[23]
v_accvgpr_read_b32 v[vgprValuC+40], acc12 // copy acc to vreg[24]
v_accvgpr_read_b32 v[vgprValuC+41], acc28 // copy acc to vreg[25]
v_accvgpr_read_b32 v[vgprValuC+42], acc13 // copy acc to vreg[26]
v_accvgpr_read_b32 v[vgprValuC+43], acc29 // copy acc to vreg[27]
v_accvgpr_read_b32 v[vgprValuC+44], acc14 // copy acc to vreg[28]
v_accvgpr_read_b32 v[vgprValuC+45], acc30 // copy acc to vreg[29]
v_accvgpr_read_b32 v[vgprValuC+46], acc15 // copy acc to vreg[30]
v_accvgpr_read_b32 v[vgprValuC+47], acc31 // copy acc to vreg[31]
v_accvgpr_read_b32 v[vgprValuC+48], acc32 // copy acc to vreg[32]
v_accvgpr_read_b32 v[vgprValuC+49], acc48 // copy acc to vreg[33]
v_accvgpr_read_b32 v[vgprValuC+50], acc33 // copy acc to vreg[34]
v_accvgpr_read_b32 v[vgprValuC+51], acc49 // copy acc to vreg[35]
v_accvgpr_read_b32 v[vgprValuC+52], acc34 // copy acc to vreg[36]
v_accvgpr_read_b32 v[vgprValuC+53], acc50 // copy acc to vreg[37]
v_accvgpr_read_b32 v[vgprValuC+54], acc35 // copy acc to vreg[38]
v_accvgpr_read_b32 v[vgprValuC+55], acc51 // copy acc to vreg[39]
v_accvgpr_read_b32 v[vgprValuC+56], acc36 // copy acc to vreg[40]
v_accvgpr_read_b32 v[vgprValuC+57], acc52 // copy acc to vreg[41]
v_accvgpr_read_b32 v[vgprValuC+58], acc37 // copy acc to vreg[42]
v_accvgpr_read_b32 v[vgprValuC+59], acc53 // copy acc to vreg[43]
v_accvgpr_read_b32 v[vgprValuC+60], acc38 // copy acc to vreg[44]
v_accvgpr_read_b32 v[vgprValuC+61], acc54 // copy acc to vreg[45]
v_accvgpr_read_b32 v[vgprValuC+62], acc39 // copy acc to vreg[46]
v_accvgpr_read_b32 v[vgprValuC+63], acc55 // copy acc to vreg[47]
v_accvgpr_read_b32 v[vgprValuC+64], acc40 // copy acc to vreg[48]
v_accvgpr_read_b32 v[vgprValuC+65], acc56 // copy acc to vreg[49]
v_accvgpr_read_b32 v[vgprValuC+66], acc41 // copy acc to vreg[50]
v_accvgpr_read_b32 v[vgprValuC+67], acc57 // copy acc to vreg[51]
v_accvgpr_read_b32 v[vgprValuC+68], acc42 // copy acc to vreg[52]
v_accvgpr_read_b32 v[vgprValuC+69], acc58 // copy acc to vreg[53]
v_accvgpr_read_b32 v[vgprValuC+70], acc43 // copy acc to vreg[54]
v_accvgpr_read_b32 v[vgprValuC+71], acc59 // copy acc to vreg[55]
v_accvgpr_read_b32 v[vgprValuC+72], acc44 // copy acc to vreg[56]
v_accvgpr_read_b32 v[vgprValuC+73], acc60 // copy acc to vreg[57]
v_accvgpr_read_b32 v[vgprValuC+74], acc45 // copy acc to vreg[58]
v_accvgpr_read_b32 v[vgprValuC+75], acc61 // copy acc to vreg[59]
v_accvgpr_read_b32 v[vgprValuC+76], acc46 // copy acc to vreg[60]
v_accvgpr_read_b32 v[vgprValuC+77], acc62 // copy acc to vreg[61]
v_accvgpr_read_b32 v[vgprValuC+78], acc47 // copy acc to vreg[62]
v_accvgpr_read_b32 v[vgprValuC+79], acc63 // copy acc to vreg[63]
s_nop 1                                            // 2 wait states required before reading vgpr

/* apply mask, calc new C and issue writes */
v_mov_b32 v7, 0xffff0000                           // mask for pack two bfloat16 element to 32bit
v_mov_b32 v8, 0x7fff0000                           // fp32 Nan
v_mov_b32 v9, 0x7fff                               // rounding bias for bfloat16
v_cmp_u_f32 s[54:55], v[vgprValuC+12], v[vgprValuC+12] // check Nan
v_bfe_u32 v6, v[vgprValuC+12], 16, 1               // Non-Nan case: store lsb of bf16
v_add3_u32 v6, v[vgprValuC+12], v6, v9             // Non-Nan case: add lsb and the increment for rounding
v_cndmask_b32 v[vgprValuC+12], v6, v8, s[54:55]    // 
v_lshrrev_b32 v[vgprValuC+12], 16, v[vgprValuC+12] // convert C to bf16
v_cmp_u_f32 s[54:55], v[vgprValuC+13], v[vgprValuC+13] // check Nan
v_bfe_u32 v6, v[vgprValuC+13], 16, 1               // Non-Nan case: store lsb of bf16
v_add3_u32 v6, v[vgprValuC+13], v6, v9             // Non-Nan case: add lsb and the increment for rounding
v_cndmask_b32 v[vgprValuC+13], v6, v8, s[54:55]    // 
v_and_or_b32 v12, v[vgprValuC+13], v7, v[vgprValuC+12] // pack two bf16 to dword
v_cmp_u_f32 s[54:55], v[vgprValuC+14], v[vgprValuC+14] // check Nan
v_bfe_u32 v6, v[vgprValuC+14], 16, 1               // Non-Nan case: store lsb of bf16
v_add3_u32 v6, v[vgprValuC+14], v6, v9             // Non-Nan case: add lsb and the increment for rounding
v_cndmask_b32 v[vgprValuC+14], v6, v8, s[54:55]    // 
v_lshrrev_b32 v[vgprValuC+14], 16, v[vgprValuC+14] // convert C to bf16
v_cmp_u_f32 s[54:55], v[vgprValuC+15], v[vgprValuC+15] // check Nan
v_bfe_u32 v6, v[vgprValuC+15], 16, 1               // Non-Nan case: store lsb of bf16
v_add3_u32 v6, v[vgprValuC+15], v6, v9             // Non-Nan case: add lsb and the increment for rounding
v_cndmask_b32 v[vgprValuC+15], v6, v8, s[54:55]    // 
v_and_or_b32 v13, v[vgprValuC+15], v7, v[vgprValuC+14] // pack two bf16 to dword
_buffer_store_b64 v[12:13], v10, s[sgprSrdD:sgprSrdD+3], 0, offen, offset:0 // store D
v_cmp_u_f32 s[54:55], v[vgprValuC+16], v[vgprValuC+16] // check Nan
v_bfe_u32 v6, v[vgprValuC+16], 16, 1               // Non-Nan case: store lsb of bf16
v_add3_u32 v6, v[vgprValuC+16], v6, v9             // Non-Nan case: add lsb and the increment for rounding
v_cndmask_b32 v[vgprValuC+16], v6, v8, s[54:55]    // 
v_lshrrev_b32 v[vgprValuC+16], 16, v[vgprValuC+16] // convert C to bf16
v_cmp_u_f32 s[54:55], v[vgprValuC+17], v[vgprValuC+17] // check Nan
v_bfe_u32 v6, v[vgprValuC+17], 16, 1               // Non-Nan case: store lsb of bf16
v_add3_u32 v6, v[vgprValuC+17], v6, v9             // Non-Nan case: add lsb and the increment for rounding
v_cndmask_b32 v[vgprValuC+17], v6, v8, s[54:55]    // 
v_and_or_b32 v16, v[vgprValuC+17], v7, v[vgprValuC+16] // pack two bf16 to dword
v_cmp_u_f32 s[54:55], v[vgprValuC+18], v[vgprValuC+18] // check Nan
v_bfe_u32 v6, v[vgprValuC+18], 16, 1               // Non-Nan case: store lsb of bf16
v_add3_u32 v6, v[vgprValuC+18], v6, v9             // Non-Nan case: add lsb and the increment for rounding
v_cndmask_b32 v[vgprValuC+18], v6, v8, s[54:55]    // 
v_lshrrev_b32 v[vgprValuC+18], 16, v[vgprValuC+18] // convert C to bf16
v_cmp_u_f32 s[54:55], v[vgprValuC+19], v[vgprValuC+19] // check Nan
v_bfe_u32 v6, v[vgprValuC+19], 16, 1               // Non-Nan case: store lsb of bf16
v_add3_u32 v6, v[vgprValuC+19], v6, v9             // Non-Nan case: add lsb and the increment for rounding
v_cndmask_b32 v[vgprValuC+19], v6, v8, s[54:55]    // 
v_and_or_b32 v17, v[vgprValuC+19], v7, v[vgprValuC+18] // pack two bf16 to dword
_buffer_store_b64 v[16:17], v10, s[sgprSrdD:sgprSrdD+3], 0, offen, offset:8 // store D
	;; [unrolled: 21-line block ×8, first 2 shown]
v_cmp_u_f32 s[54:55], v[vgprValuC+48], v[vgprValuC+48] // check Nan
v_bfe_u32 v6, v[vgprValuC+48], 16, 1               // Non-Nan case: store lsb of bf16
v_add3_u32 v6, v[vgprValuC+48], v6, v9             // Non-Nan case: add lsb and the increment for rounding
v_cndmask_b32 v[vgprValuC+48], v6, v8, s[54:55]    // 
v_lshrrev_b32 v[vgprValuC+48], 16, v[vgprValuC+48] // convert C to bf16
v_cmp_u_f32 s[54:55], v[vgprValuC+49], v[vgprValuC+49] // check Nan
v_bfe_u32 v6, v[vgprValuC+49], 16, 1               // Non-Nan case: store lsb of bf16
v_add3_u32 v6, v[vgprValuC+49], v6, v9             // Non-Nan case: add lsb and the increment for rounding
v_cndmask_b32 v[vgprValuC+49], v6, v8, s[54:55]    // 
v_and_or_b32 v48, v[vgprValuC+49], v7, v[vgprValuC+48] // pack two bf16 to dword
v_cmp_u_f32 s[54:55], v[vgprValuC+50], v[vgprValuC+50] // check Nan
v_bfe_u32 v6, v[vgprValuC+50], 16, 1               // Non-Nan case: store lsb of bf16
v_add3_u32 v6, v[vgprValuC+50], v6, v9             // Non-Nan case: add lsb and the increment for rounding
v_cndmask_b32 v[vgprValuC+50], v6, v8, s[54:55]    // 
v_lshrrev_b32 v[vgprValuC+50], 16, v[vgprValuC+50] // convert C to bf16
v_cmp_u_f32 s[54:55], v[vgprValuC+51], v[vgprValuC+51] // check Nan
v_bfe_u32 v6, v[vgprValuC+51], 16, 1               // Non-Nan case: store lsb of bf16
v_add3_u32 v6, v[vgprValuC+51], v6, v9             // Non-Nan case: add lsb and the increment for rounding
v_cndmask_b32 v[vgprValuC+51], v6, v8, s[54:55]    // 
v_and_or_b32 v49, v[vgprValuC+51], v7, v[vgprValuC+50] // pack two bf16 to dword
s_lshl_b32  s54, s[sgprStrideD1J], 1               // incToNextRow: Scale by BPE
s_add_u32  s[sgprSrdD+0], s[sgprSrdD+0], s54       // incToNextRow: gra SRD += inc(lower)
s_addc_u32  s[sgprSrdD+1], s[sgprSrdD+1], 0        // incToNextRow: gra SRD += inc(upper)
_buffer_store_b64 v[48:49], v10, s[sgprSrdD:sgprSrdD+3], 0, offen, offset:0 // store D
v_cmp_u_f32 s[54:55], v[vgprValuC+52], v[vgprValuC+52] // check Nan
v_bfe_u32 v6, v[vgprValuC+52], 16, 1               // Non-Nan case: store lsb of bf16
v_add3_u32 v6, v[vgprValuC+52], v6, v9             // Non-Nan case: add lsb and the increment for rounding
v_cndmask_b32 v[vgprValuC+52], v6, v8, s[54:55]    // 
v_lshrrev_b32 v[vgprValuC+52], 16, v[vgprValuC+52] // convert C to bf16
v_cmp_u_f32 s[54:55], v[vgprValuC+53], v[vgprValuC+53] // check Nan
v_bfe_u32 v6, v[vgprValuC+53], 16, 1               // Non-Nan case: store lsb of bf16
v_add3_u32 v6, v[vgprValuC+53], v6, v9             // Non-Nan case: add lsb and the increment for rounding
v_cndmask_b32 v[vgprValuC+53], v6, v8, s[54:55]    // 
v_and_or_b32 v52, v[vgprValuC+53], v7, v[vgprValuC+52] // pack two bf16 to dword
v_cmp_u_f32 s[54:55], v[vgprValuC+54], v[vgprValuC+54] // check Nan
v_bfe_u32 v6, v[vgprValuC+54], 16, 1               // Non-Nan case: store lsb of bf16
v_add3_u32 v6, v[vgprValuC+54], v6, v9             // Non-Nan case: add lsb and the increment for rounding
v_cndmask_b32 v[vgprValuC+54], v6, v8, s[54:55]    // 
v_lshrrev_b32 v[vgprValuC+54], 16, v[vgprValuC+54] // convert C to bf16
v_cmp_u_f32 s[54:55], v[vgprValuC+55], v[vgprValuC+55] // check Nan
v_bfe_u32 v6, v[vgprValuC+55], 16, 1               // Non-Nan case: store lsb of bf16
v_add3_u32 v6, v[vgprValuC+55], v6, v9             // Non-Nan case: add lsb and the increment for rounding
v_cndmask_b32 v[vgprValuC+55], v6, v8, s[54:55]    // 
v_and_or_b32 v53, v[vgprValuC+55], v7, v[vgprValuC+54] // pack two bf16 to dword
_buffer_store_b64 v[52:53], v10, s[sgprSrdD:sgprSrdD+3], 0, offen, offset:8 // store D
v_cmp_u_f32 s[54:55], v[vgprValuC+56], v[vgprValuC+56] // check Nan
v_bfe_u32 v6, v[vgprValuC+56], 16, 1               // Non-Nan case: store lsb of bf16
v_add3_u32 v6, v[vgprValuC+56], v6, v9             // Non-Nan case: add lsb and the increment for rounding
v_cndmask_b32 v[vgprValuC+56], v6, v8, s[54:55]    // 
v_lshrrev_b32 v[vgprValuC+56], 16, v[vgprValuC+56] // convert C to bf16
v_cmp_u_f32 s[54:55], v[vgprValuC+57], v[vgprValuC+57] // check Nan
v_bfe_u32 v6, v[vgprValuC+57], 16, 1               // Non-Nan case: store lsb of bf16
v_add3_u32 v6, v[vgprValuC+57], v6, v9             // Non-Nan case: add lsb and the increment for rounding
v_cndmask_b32 v[vgprValuC+57], v6, v8, s[54:55]    // 
v_and_or_b32 v56, v[vgprValuC+57], v7, v[vgprValuC+56] // pack two bf16 to dword
v_cmp_u_f32 s[54:55], v[vgprValuC+58], v[vgprValuC+58] // check Nan
v_bfe_u32 v6, v[vgprValuC+58], 16, 1               // Non-Nan case: store lsb of bf16
v_add3_u32 v6, v[vgprValuC+58], v6, v9             // Non-Nan case: add lsb and the increment for rounding
v_cndmask_b32 v[vgprValuC+58], v6, v8, s[54:55]    // 
v_lshrrev_b32 v[vgprValuC+58], 16, v[vgprValuC+58] // convert C to bf16
v_cmp_u_f32 s[54:55], v[vgprValuC+59], v[vgprValuC+59] // check Nan
v_bfe_u32 v6, v[vgprValuC+59], 16, 1               // Non-Nan case: store lsb of bf16
v_add3_u32 v6, v[vgprValuC+59], v6, v9             // Non-Nan case: add lsb and the increment for rounding
v_cndmask_b32 v[vgprValuC+59], v6, v8, s[54:55]    // 
v_and_or_b32 v57, v[vgprValuC+59], v7, v[vgprValuC+58] // pack two bf16 to dword
	;; [unrolled: 21-line block ×7, first 2 shown]
_buffer_store_b64 v[76:77], v10, s[sgprSrdD:sgprSrdD+3], 0, offen, offset:104 // store D
s_nop 0                                            // 1 wait state required when next inst writes vgprs held by previous dwordx4 store inst
s_branch label_GW_End_21                           // jump to end
label_GW_End_21:

s_endpgm                                           // Kernel End
OptNLL_End_15:


/******************************************/
/* Ord. NoLoadLoop - Begin                                      */
/******************************************/


	;; [unrolled: 1-line block ×4, first 2 shown]
/* iter 0 (last unrolled loop) */

/*  grEndMfmaIndex:0, lwStartMfmaIndex:28, lwEndMfmaIndex:28  */
/*  numMfmaForLR:1, barrierMfmaIndex:30 */
/*  mfmaIndex:0  */
s_waitcnt lgkmcnt(0)                               // lgkmcnt=0 vmcnt=-1wait for prior local read local write old=0, new=0 newLW=0 newLR=0
v_mfma_f32_32x32x4bf16 a[0+0:15+0], v[vgprValuA_X0_I0+0+0+0], v[vgprValuB_X0_I0+0+0+0], a[0:15]
/*  mfmaIndex:1  */
_ds_load_b32 v[vgprValuA_X1_I0+0], v[vgprLocalReadAddrA] offset:8 // L -> Reg lro=4 swapByteOffset=0 ti=128 vIdx=0 rIdx=0 oIdx=0 buffer=1 iui=0
_ds_load_b32 v[vgprValuB_X1_I0+0], v[vgprLocalReadAddrB] offset:8 // L -> Reg lro=4 swapByteOffset=0 ti=128 vIdx=0 rIdx=0 oIdx=0 buffer=1 iui=0
_ds_load_b32 v[vgprValuA_X1_I0+1], v[vgprLocalReadAddrA] offset:72 // L -> Reg lro=4 swapByteOffset=0 ti=128 vIdx=0 rIdx=0 oIdx=0 buffer=1 iui=0
_ds_load_b32 v[vgprValuB_X1_I0+1], v[vgprLocalReadAddrB] offset:72 // L -> Reg lro=4 swapByteOffset=0 ti=128 vIdx=0 rIdx=0 oIdx=0 buffer=1 iui=0
/* localReadsVacancy: latencyLeft 5 */
v_mfma_f32_32x32x4bf16 a[16+0:31+0], v[vgprValuA_X0_I0+1+0+0], v[vgprValuB_X0_I0+0+0+0], a[16:31]
/*  mfmaIndex:2  */
/* localReadsVacancy: latencyLeft 13 */
v_mfma_f32_32x32x4bf16 a[48+0:63+0], v[vgprValuA_X0_I0+1+0+0], v[vgprValuB_X0_I0+1+0+0], a[48:63]
/*  mfmaIndex:3  */
/* localReadsVacancy: latencyLeft 13 */
v_mfma_f32_32x32x4bf16 a[32+0:47+0], v[vgprValuA_X0_I0+0+0+0], v[vgprValuB_X0_I0+1+0+0], a[32:47]
/* numPrefetchIter=0 */
/* dataAtIterA=-1 numReadsIterA=1 skipReadsIterA=1 readsPerIterA=2 */
/* dataAtIterB=-1 numReadsIterB=1 skipReadsIterB=1 readsPerIterB=2 */


/* iter 1 (last unrolled loop) */

/*  grEndMfmaIndex:0, lwStartMfmaIndex:28, lwEndMfmaIndex:28  */
/*  numMfmaForLR:1, barrierMfmaIndex:30 */
/*  mfmaIndex:4  */
_ds_load_b32 v[vgprValuA_X0_I0+0], v[vgprLocalReadAddrA] offset:16 // L -> Reg lro=8 swapByteOffset=0 ti=128 vIdx=0 rIdx=0 oIdx=0 buffer=0 iui=0
_ds_load_b32 v[vgprValuB_X0_I0+0], v[vgprLocalReadAddrB] offset:16 // L -> Reg lro=8 swapByteOffset=0 ti=128 vIdx=0 rIdx=0 oIdx=0 buffer=0 iui=0
_ds_load_b32 v[vgprValuA_X0_I0+1], v[vgprLocalReadAddrA] offset:80 // L -> Reg lro=8 swapByteOffset=0 ti=128 vIdx=0 rIdx=0 oIdx=0 buffer=0 iui=0
_ds_load_b32 v[vgprValuB_X0_I0+1], v[vgprLocalReadAddrB] offset:80 // L -> Reg lro=8 swapByteOffset=0 ti=128 vIdx=0 rIdx=0 oIdx=0 buffer=0 iui=0
/* localReadsVacancy: latencyLeft 5 */
s_waitcnt lgkmcnt(4)                               // lgkmcnt=0 vmcnt=-1wait for prior local read local write old=0, new=4 newLW=0 newLR=4
v_mfma_f32_32x32x4bf16 a[0+0:15+0], v[vgprValuA_X1_I0+0+0+0], v[vgprValuB_X1_I0+0+0+0], a[0:15]
/*  mfmaIndex:5  */
/* localReadsVacancy: latencyLeft 13 */
v_mfma_f32_32x32x4bf16 a[16+0:31+0], v[vgprValuA_X1_I0+1+0+0], v[vgprValuB_X1_I0+0+0+0], a[16:31]
/*  mfmaIndex:6  */
/* localReadsVacancy: latencyLeft 13 */
v_mfma_f32_32x32x4bf16 a[48+0:63+0], v[vgprValuA_X1_I0+1+0+0], v[vgprValuB_X1_I0+1+0+0], a[48:63]
/*  mfmaIndex:7  */
/* localReadsVacancy: latencyLeft 13 */
v_mfma_f32_32x32x4bf16 a[32+0:47+0], v[vgprValuA_X1_I0+0+0+0], v[vgprValuB_X1_I0+1+0+0], a[32:47]
/* numPrefetchIter=0 */
/* dataAtIterA=0 numReadsIterA=2 skipReadsIterA=1 readsPerIterA=2 */
/* dataAtIterB=0 numReadsIterB=2 skipReadsIterB=1 readsPerIterB=2 */


/* iter 2 (last unrolled loop) */

/*  grEndMfmaIndex:0, lwStartMfmaIndex:28, lwEndMfmaIndex:28  */
/*  numMfmaForLR:1, barrierMfmaIndex:30 */
/*  mfmaIndex:8  */
_ds_load_b32 v[vgprValuA_X1_I0+0], v[vgprLocalReadAddrA] offset:24 // L -> Reg lro=12 swapByteOffset=0 ti=128 vIdx=0 rIdx=0 oIdx=0 buffer=1 iui=0
_ds_load_b32 v[vgprValuB_X1_I0+0], v[vgprLocalReadAddrB] offset:24 // L -> Reg lro=12 swapByteOffset=0 ti=128 vIdx=0 rIdx=0 oIdx=0 buffer=1 iui=0
_ds_load_b32 v[vgprValuA_X1_I0+1], v[vgprLocalReadAddrA] offset:88 // L -> Reg lro=12 swapByteOffset=0 ti=128 vIdx=0 rIdx=0 oIdx=0 buffer=1 iui=0
_ds_load_b32 v[vgprValuB_X1_I0+1], v[vgprLocalReadAddrB] offset:88 // L -> Reg lro=12 swapByteOffset=0 ti=128 vIdx=0 rIdx=0 oIdx=0 buffer=1 iui=0
/* localReadsVacancy: latencyLeft 5 */
s_waitcnt lgkmcnt(4)                               // lgkmcnt=0 vmcnt=-1wait for prior local read local write old=0, new=4 newLW=0 newLR=4
v_mfma_f32_32x32x4bf16 a[0+0:15+0], v[vgprValuA_X0_I0+0+0+0], v[vgprValuB_X0_I0+0+0+0], a[0:15]
/*  mfmaIndex:9  */
/* localReadsVacancy: latencyLeft 13 */
v_mfma_f32_32x32x4bf16 a[16+0:31+0], v[vgprValuA_X0_I0+1+0+0], v[vgprValuB_X0_I0+0+0+0], a[16:31]
/*  mfmaIndex:10  */
/* localReadsVacancy: latencyLeft 13 */
v_mfma_f32_32x32x4bf16 a[48+0:63+0], v[vgprValuA_X0_I0+1+0+0], v[vgprValuB_X0_I0+1+0+0], a[48:63]
/*  mfmaIndex:11  */
/* localReadsVacancy: latencyLeft 13 */
v_mfma_f32_32x32x4bf16 a[32+0:47+0], v[vgprValuA_X0_I0+0+0+0], v[vgprValuB_X0_I0+1+0+0], a[32:47]
/* numPrefetchIter=0 */
/* dataAtIterA=1 numReadsIterA=3 skipReadsIterA=1 readsPerIterA=2 */
/* dataAtIterB=1 numReadsIterB=3 skipReadsIterB=1 readsPerIterB=2 */


/* iter 3 (last unrolled loop) */

/*  grEndMfmaIndex:0, lwStartMfmaIndex:28, lwEndMfmaIndex:28  */
/*  numMfmaForLR:1, barrierMfmaIndex:30 */
/*  mfmaIndex:12  */
_ds_load_b32 v[vgprValuA_X0_I0+0], v[vgprLocalReadAddrA] offset:32 // L -> Reg lro=16 swapByteOffset=0 ti=128 vIdx=0 rIdx=0 oIdx=0 buffer=0 iui=0
_ds_load_b32 v[vgprValuB_X0_I0+0], v[vgprLocalReadAddrB] offset:32 // L -> Reg lro=16 swapByteOffset=0 ti=128 vIdx=0 rIdx=0 oIdx=0 buffer=0 iui=0
_ds_load_b32 v[vgprValuA_X0_I0+1], v[vgprLocalReadAddrA] offset:96 // L -> Reg lro=16 swapByteOffset=0 ti=128 vIdx=0 rIdx=0 oIdx=0 buffer=0 iui=0
_ds_load_b32 v[vgprValuB_X0_I0+1], v[vgprLocalReadAddrB] offset:96 // L -> Reg lro=16 swapByteOffset=0 ti=128 vIdx=0 rIdx=0 oIdx=0 buffer=0 iui=0
/* localReadsVacancy: latencyLeft 5 */
s_waitcnt lgkmcnt(4)                               // lgkmcnt=0 vmcnt=-1wait for prior local read local write old=0, new=4 newLW=0 newLR=4
v_mfma_f32_32x32x4bf16 a[0+0:15+0], v[vgprValuA_X1_I0+0+0+0], v[vgprValuB_X1_I0+0+0+0], a[0:15]
/*  mfmaIndex:13  */
/* localReadsVacancy: latencyLeft 13 */
v_mfma_f32_32x32x4bf16 a[16+0:31+0], v[vgprValuA_X1_I0+1+0+0], v[vgprValuB_X1_I0+0+0+0], a[16:31]
/*  mfmaIndex:14  */
/* localReadsVacancy: latencyLeft 13 */
v_mfma_f32_32x32x4bf16 a[48+0:63+0], v[vgprValuA_X1_I0+1+0+0], v[vgprValuB_X1_I0+1+0+0], a[48:63]
/*  mfmaIndex:15  */
/* localReadsVacancy: latencyLeft 13 */
v_mfma_f32_32x32x4bf16 a[32+0:47+0], v[vgprValuA_X1_I0+0+0+0], v[vgprValuB_X1_I0+1+0+0], a[32:47]
/* numPrefetchIter=0 */
/* dataAtIterA=2 numReadsIterA=4 skipReadsIterA=1 readsPerIterA=2 */
/* dataAtIterB=2 numReadsIterB=4 skipReadsIterB=1 readsPerIterB=2 */


/* iter 4 (last unrolled loop) */

/*  grEndMfmaIndex:0, lwStartMfmaIndex:28, lwEndMfmaIndex:28  */
/*  numMfmaForLR:1, barrierMfmaIndex:30 */
/*  mfmaIndex:16  */
_ds_load_b32 v[vgprValuA_X1_I0+0], v[vgprLocalReadAddrA] offset:40 // L -> Reg lro=20 swapByteOffset=0 ti=128 vIdx=0 rIdx=0 oIdx=0 buffer=1 iui=0
_ds_load_b32 v[vgprValuB_X1_I0+0], v[vgprLocalReadAddrB] offset:40 // L -> Reg lro=20 swapByteOffset=0 ti=128 vIdx=0 rIdx=0 oIdx=0 buffer=1 iui=0
_ds_load_b32 v[vgprValuA_X1_I0+1], v[vgprLocalReadAddrA] offset:104 // L -> Reg lro=20 swapByteOffset=0 ti=128 vIdx=0 rIdx=0 oIdx=0 buffer=1 iui=0
_ds_load_b32 v[vgprValuB_X1_I0+1], v[vgprLocalReadAddrB] offset:104 // L -> Reg lro=20 swapByteOffset=0 ti=128 vIdx=0 rIdx=0 oIdx=0 buffer=1 iui=0
/* localReadsVacancy: latencyLeft 5 */
s_waitcnt lgkmcnt(4)                               // lgkmcnt=0 vmcnt=-1wait for prior local read local write old=0, new=4 newLW=0 newLR=4
v_mfma_f32_32x32x4bf16 a[0+0:15+0], v[vgprValuA_X0_I0+0+0+0], v[vgprValuB_X0_I0+0+0+0], a[0:15]
/*  mfmaIndex:17  */
/* localReadsVacancy: latencyLeft 13 */
v_mfma_f32_32x32x4bf16 a[16+0:31+0], v[vgprValuA_X0_I0+1+0+0], v[vgprValuB_X0_I0+0+0+0], a[16:31]
/*  mfmaIndex:18  */
/* localReadsVacancy: latencyLeft 13 */
v_mfma_f32_32x32x4bf16 a[48+0:63+0], v[vgprValuA_X0_I0+1+0+0], v[vgprValuB_X0_I0+1+0+0], a[48:63]
/*  mfmaIndex:19  */
/* localReadsVacancy: latencyLeft 13 */
v_mfma_f32_32x32x4bf16 a[32+0:47+0], v[vgprValuA_X0_I0+0+0+0], v[vgprValuB_X0_I0+1+0+0], a[32:47]
/* numPrefetchIter=0 */
/* dataAtIterA=3 numReadsIterA=5 skipReadsIterA=1 readsPerIterA=2 */
/* dataAtIterB=3 numReadsIterB=5 skipReadsIterB=1 readsPerIterB=2 */
	;; [unrolled: 52-line block ×3, first 2 shown]


/* iter 7 (last unrolled loop) */

/*  grEndMfmaIndex:0, lwStartMfmaIndex:28, lwEndMfmaIndex:28  */
/*  numMfmaForLR:1, barrierMfmaIndex:30 */
/*  mfmaIndex:28  */
s_waitcnt lgkmcnt(0)                               // lgkmcnt=0 vmcnt=-1wait for prior local read local write old=0, new=0 newLW=0 newLR=0
v_mfma_f32_32x32x4bf16 a[0+0:15+0], v[vgprValuA_X1_I0+0+0+0], v[vgprValuB_X1_I0+0+0+0], a[0:15]
/*  mfmaIndex:29  */
v_mfma_f32_32x32x4bf16 a[16+0:31+0], v[vgprValuA_X1_I0+1+0+0], v[vgprValuB_X1_I0+0+0+0], a[16:31]
/*  mfmaIndex:30  */
v_mfma_f32_32x32x4bf16 a[48+0:63+0], v[vgprValuA_X1_I0+1+0+0], v[vgprValuB_X1_I0+1+0+0], a[48:63]
/*  mfmaIndex:31  */
v_mfma_f32_32x32x4bf16 a[32+0:47+0], v[vgprValuA_X1_I0+0+0+0], v[vgprValuB_X1_I0+1+0+0], a[32:47]
/* numPrefetchIter=0 */
/* dataAtIterA=6 numReadsIterA=7 skipReadsIterA=0 readsPerIterA=2 */
/* dataAtIterB=6 numReadsIterB=7 skipReadsIterB=0 readsPerIterB=2 */

PrefetchGlobalLastIterEnd_5:


/******************************************/
/* Tail Loop                              */
/******************************************/


/* local write reset offsets a */


v_and_b32 v[vgprLocalWriteAddrA], 0xf07fff, v[vgprLocalWriteAddrA] // reset to Red


/* local write reset offsets b */


v_and_b32 v[vgprLocalWriteAddrB], 0xf07fff, v[vgprLocalWriteAddrB] // reset to Red


//numIterL = (((sizeL % LOCAL_DEPTHU) + LOCAL_SPLITU - 1) / LOCAL_SPLITU)
s_and_b32 s[sgprLoopCounterL], 31, s[sgprSizesSum+0] // s[sgprLoopCounterL] = s[sgprSizesSum+0] % 32
s_cmp_eq_u32 s[sgprLoopCounterL], 0x0              // numIterL == 0
s_cbranch_scc1 SkipTailLoopL_8                     // skip to end of tail loop b/c numIter==0
s_mov_b32 s[sgprOrigLoopCounter], 0                // repurpose to count each localRead increment


/* remove stagger offsets for tail loop */

s_mov_b32 s62, 3                                   // 
s_mul_hi_u32 s61, s62, s[sgprGlobalReadIncsA+0]    // 3 * GlobalReadIncs
s_mul_i32 s60, s62, s[sgprGlobalReadIncsA+0]       // 3 * GlobalReadIncs
s_mul_hi_u32 s63, s[sgprStaggerUIter], s[sgprGlobalReadIncsA+0] // StaggerUIter * GlobalReadIncs
s_mul_i32 s62, s[sgprStaggerUIter], s[sgprGlobalReadIncsA+0] // StaggerUIter * GlobalReadIncs
s_sub_u32 s60, s60, s62                            // start offset S in bytes
s_subb_u32 s61, s61, s63                           // start offset S in bytes
s_sub_u32 s60, s60, s[sgprWrapUA]                  // S - WrapU
s_subb_u32 s61, s61, s[sgprWrapUA+1]               // S - WrapU
s_add_u32 s[sgprSrdA+0], s[sgprSrdA+0], s60        // gra SRD += inc(lower)
s_addc_u32  s[sgprSrdA+1], s[sgprSrdA+1], s61      // gra SRD += inc(upper)
s_sub_u32 s[sgprShadowLimitA+0], s[sgprShadowLimitA+0], s60 // limit -= inc)
s_subb_u32 s[sgprShadowLimitA+1], s[sgprShadowLimitA+1], s61 // limit -= inc)
s_cmp_eq_u32 s[sgprShadowLimitA+1], 0              // are we within 2^32?
s_cselect_b32 s[sgprSrdA+2], s[sgprShadowLimitA+0], BufferLimitA // Move shadow to real if we are within 2^32

s_mov_b32 s62, 3                                   // 
s_mul_hi_u32 s61, s62, s[sgprGlobalReadIncsB+0]    // 3 * GlobalReadIncs
s_mul_i32 s60, s62, s[sgprGlobalReadIncsB+0]       // 3 * GlobalReadIncs
s_mul_hi_u32 s63, s[sgprStaggerUIter], s[sgprGlobalReadIncsB+0] // StaggerUIter * GlobalReadIncs
s_mul_i32 s62, s[sgprStaggerUIter], s[sgprGlobalReadIncsB+0] // StaggerUIter * GlobalReadIncs
s_sub_u32 s60, s60, s62                            // start offset S in bytes
s_subb_u32 s61, s61, s63                           // start offset S in bytes
s_sub_u32 s60, s60, s[sgprWrapUB]                  // S - WrapU
s_subb_u32 s61, s61, s[sgprWrapUB+1]               // S - WrapU
s_add_u32 s[sgprSrdB+0], s[sgprSrdB+0], s60        // gra SRD += inc(lower)
s_addc_u32  s[sgprSrdB+1], s[sgprSrdB+1], s61      // gra SRD += inc(upper)
s_sub_u32 s[sgprShadowLimitB+0], s[sgprShadowLimitB+0], s60 // limit -= inc)
s_subb_u32 s[sgprShadowLimitB+1], s[sgprShadowLimitB+1], s61 // limit -= inc)
s_cmp_eq_u32 s[sgprShadowLimitB+1], 0              // are we within 2^32?
s_cselect_b32 s[sgprSrdB+2], s[sgprShadowLimitB+0], BufferLimitB // Move shadow to real if we are within 2^32


/* Update M0 for DTLDS */


	;; [unrolled: 1-line block ×3, first 2 shown]
/* global read a */

/* g2l=0, load component 0 */
_buffer_load_d16_b16 v[vgprG2LA+0+0], v[vgprGlobalReadOffsetA+0], s[sgprSrdA:sgprSrdA+3], 0, offen offset:0 // load one buffer value
/* g2l=0, load component 1 */
_buffer_load_d16_hi_b16 v31, v[vgprGlobalReadOffsetA+0], s[sgprSrdA:sgprSrdA+3], 0, offen offset:2 // load one buffer value
s_waitcnt vmcnt(0)
v_or_b32 v[vgprG2LA+0+0], v[vgprG2LA+0+0], v31 // HasEccHalf: pack
/* g2l=0, load component 2 */
_buffer_load_d16_b16 v[vgprG2LA+0+1], v[vgprGlobalReadOffsetA+0], s[sgprSrdA:sgprSrdA+3], 0, offen offset:4 // load one buffer value
/* g2l=0, load component 3 */
_buffer_load_d16_hi_b16 v31, v[vgprGlobalReadOffsetA+0], s[sgprSrdA:sgprSrdA+3], 0, offen offset:6 // load one buffer value
s_waitcnt vmcnt(0)
v_or_b32 v[vgprG2LA+0+1], v[vgprG2LA+0+1], v31 // HasEccHalf: pack
	;; [unrolled: 6-line block ×4, first 2 shown]
/* g2l=4, load component 0 */
_buffer_load_d16_b16 v[vgprG2LA+4+0], v[vgprGlobalReadOffsetA+0], s[sgprSrdA:sgprSrdA+3], s[sgprScalarGlobalReadOffsetA+0], offen offset:0 // load one buffer value
/* g2l=4, load component 1 */
_buffer_load_d16_hi_b16 v31, v[vgprGlobalReadOffsetA+0], s[sgprSrdA:sgprSrdA+3], s[sgprScalarGlobalReadOffsetA+0], offen offset:2 // load one buffer value
s_waitcnt vmcnt(0)
v_or_b32 v[vgprG2LA+4+0], v[vgprG2LA+4+0], v31 // HasEccHalf: pack
/* g2l=4, load component 2 */
_buffer_load_d16_b16 v[vgprG2LA+4+1], v[vgprGlobalReadOffsetA+0], s[sgprSrdA:sgprSrdA+3], s[sgprScalarGlobalReadOffsetA+0], offen offset:4 // load one buffer value
/* g2l=4, load component 3 */
_buffer_load_d16_hi_b16 v31, v[vgprGlobalReadOffsetA+0], s[sgprSrdA:sgprSrdA+3], s[sgprScalarGlobalReadOffsetA+0], offen offset:6 // load one buffer value
s_waitcnt vmcnt(0)
v_or_b32 v[vgprG2LA+4+1], v[vgprG2LA+4+1], v31 // HasEccHalf: pack
	;; [unrolled: 6-line block ×4, first 2 shown]


/* Update M0 for DTLDS */



/* global read b */

/* g2l=0, load component 0 */
_buffer_load_d16_b16 v[vgprG2LB+0+0], v[vgprGlobalReadOffsetB+0], s[sgprSrdB:sgprSrdB+3], 0, offen offset:0 // load one buffer value
/* g2l=0, load component 1 */
_buffer_load_d16_hi_b16 v31, v[vgprGlobalReadOffsetB+0], s[sgprSrdB:sgprSrdB+3], 0, offen offset:2 // load one buffer value
s_waitcnt vmcnt(0)
v_or_b32 v[vgprG2LB+0+0], v[vgprG2LB+0+0], v31 // HasEccHalf: pack
/* g2l=0, load component 2 */
_buffer_load_d16_b16 v[vgprG2LB+0+1], v[vgprGlobalReadOffsetB+0], s[sgprSrdB:sgprSrdB+3], 0, offen offset:4 // load one buffer value
/* g2l=0, load component 3 */
_buffer_load_d16_hi_b16 v31, v[vgprGlobalReadOffsetB+0], s[sgprSrdB:sgprSrdB+3], 0, offen offset:6 // load one buffer value
s_waitcnt vmcnt(0)
v_or_b32 v[vgprG2LB+0+1], v[vgprG2LB+0+1], v31 // HasEccHalf: pack
	;; [unrolled: 6-line block ×4, first 2 shown]
/* g2l=4, load component 0 */
_buffer_load_d16_b16 v[vgprG2LB+4+0], v[vgprGlobalReadOffsetB+0], s[sgprSrdB:sgprSrdB+3], s[sgprScalarGlobalReadOffsetB+0], offen offset:0 // load one buffer value
/* g2l=4, load component 1 */
_buffer_load_d16_hi_b16 v31, v[vgprGlobalReadOffsetB+0], s[sgprSrdB:sgprSrdB+3], s[sgprScalarGlobalReadOffsetB+0], offen offset:2 // load one buffer value
s_waitcnt vmcnt(0)
v_or_b32 v[vgprG2LB+4+0], v[vgprG2LB+4+0], v31 // HasEccHalf: pack
/* g2l=4, load component 2 */
_buffer_load_d16_b16 v[vgprG2LB+4+1], v[vgprGlobalReadOffsetB+0], s[sgprSrdB:sgprSrdB+3], s[sgprScalarGlobalReadOffsetB+0], offen offset:4 // load one buffer value
/* g2l=4, load component 3 */
_buffer_load_d16_hi_b16 v31, v[vgprGlobalReadOffsetB+0], s[sgprSrdB:sgprSrdB+3], s[sgprScalarGlobalReadOffsetB+0], offen offset:6 // load one buffer value
s_waitcnt vmcnt(0)
v_or_b32 v[vgprG2LB+4+1], v[vgprG2LB+4+1], v31 // HasEccHalf: pack
	;; [unrolled: 6-line block ×4, first 2 shown]

s_waitcnt vmcnt(0)                                 // lgkmcnt=-1 vmcnt=02wait for global read

s_waitcnt lgkmcnt(0) & vmcnt(0)                    // force waitcnt0
s_barrier //


/* Done global A/B reads */


	;; [unrolled: 1-line block ×4, first 2 shown]
/* local write a */

_ds_store_b128 v[vgprLocalWriteAddrA], v[vgprG2LA+0:vgprG2LA+0+3] offset:0 // lwoA_0_0_0_0 = (0*LSCA)*(MT0I+PAD) + (0*LSPA) = 0
_ds_store_b128 v[vgprLocalWriteAddrA], v[vgprG2LA+4:vgprG2LA+4+3] offset:4608 // lwoA_0_0_1_0 = (0*LSCA)*(MT0I+PAD) + (1*LSPA) = 4608


/* local write b */

_ds_store_b128 v[vgprLocalWriteAddrB], v[vgprG2LB+0:vgprG2LB+0+3] offset:0 // lwoB_0_0_0_0 = (0*LSCB)*(MT1J+PAD) + (0*LSPB) = 0
_ds_store_b128 v[vgprLocalWriteAddrB], v[vgprG2LB+4:vgprG2LB+4+3] offset:4608 // lwoB_0_0_1_0 = (0*LSCB)*(MT1J+PAD) + (1*LSPB) = 4608


/* Recalc local read offsets */


s_waitcnt lgkmcnt(0)                               // lgkmcnt=0 vmcnt=-15wait for local write

s_waitcnt lgkmcnt(0) & vmcnt(0)                    // force waitcnt0
s_barrier //


/* local read reset offsets a */


/* localReadResetOffsets */
/* handled internally */
v_and_b32 v[vgprLocalReadAddrA], 0x7fff, v[vgprLocalReadAddrA] // reset Red,Blk -> Red


/* local read reset offsets b */


/* localReadResetOffsets */
/* handled internally */
v_and_b32 v[vgprLocalReadAddrB], 0x7fff, v[vgprLocalReadAddrB] // reset Red,Blk -> Red


/* local read init pointers a */


/* localReadInitPointers */


/* local read init pointers b */


/* localReadInitPointers */


/* tail loop: macs */

TailLoopBeginL_6:


/* tail loop unroll iter 0 */


/* local read a */

_ds_load_b32 v[vgprValuA_X0_I0+0], v[vgprLocalReadAddrA] offset:0 // L -> Reg lro=0 swapByteOffset=0 ti=128 vIdx=0 rIdx=0 oIdx=0 buffer=0 iui=0
_ds_load_b32 v[vgprValuA_X0_I0+1], v[vgprLocalReadAddrA] offset:64 // L -> Reg lro=0 swapByteOffset=0 ti=128 vIdx=0 rIdx=0 oIdx=0 buffer=0 iui=0


/* local read b */

_ds_load_b32 v[vgprValuB_X0_I0+0], v[vgprLocalReadAddrB] offset:0 // L -> Reg lro=0 swapByteOffset=0 ti=128 vIdx=0 rIdx=0 oIdx=0 buffer=0 iui=0
_ds_load_b32 v[vgprValuB_X0_I0+1], v[vgprLocalReadAddrB] offset:64 // L -> Reg lro=0 swapByteOffset=0 ti=128 vIdx=0 rIdx=0 oIdx=0 buffer=0 iui=0


/* local read inc a */

s_mov_b32 s56, 0x8                                 // inc
_v_add_co_u32 v[vgprLocalReadAddrA], vcc, s56, v[vgprLocalReadAddrA] // lrA += 8 (LSU*bpe)


/* local read inc b */

s_mov_b32 s56, 0x8                                 // inc
_v_add_co_u32 v[vgprLocalReadAddrB], vcc, s56, v[vgprLocalReadAddrB] // lrB += 8 (LSU*bpe)

s_waitcnt lgkmcnt(0)                               // lgkmcnt=0 vmcnt=-14wait for local read


	;; [unrolled: 1-line block ×3, first 2 shown]
/* tail loop mfma iter 0: numReadsIterCoalescedA=1, numReadsIterCoalescedB=1 */
v_and_b32 v31, 63, v[vgprSerial]                   // v31 = v[vgprSerial] % 64
v_lshrrev_b32 v31, 5, v31                          // v31 = v31 / 32
v_lshlrev_b32 v31, 0x1, v31                        // v31 = v31 * 2
v_cmp_ge_i32 s[60:61], v31, s[sgprLoopCounterL]    // check K index >= Size L
v_cndmask_b32 v[vgprValuA_X0_I0+0+0+0+0], v[vgprValuA_X0_I0+0+0+0+0], 0x0, s[60:61] // set 0 if K_idx >= sizeL
v_cndmask_b32 v[vgprValuA_X0_I0+1+0+0+0], v[vgprValuA_X0_I0+1+0+0+0], 0x0, s[60:61] // set 0 if K_idx >= sizeL
v_cndmask_b32 v[vgprValuB_X0_I0+0+0+0+0], v[vgprValuB_X0_I0+0+0+0+0], 0x0, s[60:61] // set 0 if K_idx >= sizeL
v_cndmask_b32 v[vgprValuB_X0_I0+1+0+0+0], v[vgprValuB_X0_I0+1+0+0+0], 0x0, s[60:61] // set 0 if K_idx >= sizeL
_v_sub_u32 v31, s[sgprLoopCounterL], v31           // get distance between size and k index
v_cmp_lt_i32 s[60:61], v31, 2                      // set partial 0 if distance less than input per thread
s_and_b32 s62, s[sgprLoopCounterL], 1              // get inputs for edge thread
s_sub_u32 s62, 2, s62                              // use shift to fill 0 for outside element
s_lshl_b32 s62, s62, 4                             // use shift to fill 0 for outside element
v_mov_b32 v32, -1                                  // set 0xffffffff
v_lshrrev_b32 v32, s62, v32                        // rshift mask for partial k
v_cndmask_b32 v32, -1, v32, s[60:61]               // select shifted mask for partial k
v_and_b32 v[vgprValuA_X0_I0+0+0+0+0], v[vgprValuA_X0_I0+0+0+0+0], v32 // 
v_and_b32 v[vgprValuA_X0_I0+1+0+0+0], v[vgprValuA_X0_I0+1+0+0+0], v32 // 
v_and_b32 v[vgprValuB_X0_I0+0+0+0+0], v[vgprValuB_X0_I0+0+0+0+0], v32 // 
v_and_b32 v[vgprValuB_X0_I0+1+0+0+0], v[vgprValuB_X0_I0+1+0+0+0], v32 // 
s_nop 1
v_mfma_f32_32x32x4bf16 a[0+0:15+0], v[vgprValuA_X0_I0+0+0+0], v[vgprValuB_X0_I0+0+0+0], a[0:15]
v_mfma_f32_32x32x4bf16 a[16+0:31+0], v[vgprValuA_X0_I0+1+0+0], v[vgprValuB_X0_I0+0+0+0], a[16:31]
	;; [unrolled: 1-line block ×4, first 2 shown]


/* closeLoop loopL finalLoop=0 tailLoop=1 */
s_sub_i32 s[sgprLoopCounterL], s[sgprLoopCounterL], 0x4 // dec counterL (tailLoop)
s_add_u32 s[sgprOrigLoopCounter], s[sgprOrigLoopCounter], 0x4 // inc counterL
s_cmp_le_i32 s[sgprLoopCounterL], 0x0              // counterL<=0
s_cbranch_scc1 TailLoopEndL_7                      // exit LoopL


/* tail loop unroll iter 1 */


/* local read a */

_ds_load_b32 v[vgprValuA_X1_I0+0], v[vgprLocalReadAddrA] offset:0 // L -> Reg lro=0 swapByteOffset=0 ti=128 vIdx=0 rIdx=0 oIdx=0 buffer=1 iui=0
_ds_load_b32 v[vgprValuA_X1_I0+1], v[vgprLocalReadAddrA] offset:64 // L -> Reg lro=0 swapByteOffset=0 ti=128 vIdx=0 rIdx=0 oIdx=0 buffer=1 iui=0


/* local read b */

_ds_load_b32 v[vgprValuB_X1_I0+0], v[vgprLocalReadAddrB] offset:0 // L -> Reg lro=0 swapByteOffset=0 ti=128 vIdx=0 rIdx=0 oIdx=0 buffer=1 iui=0
_ds_load_b32 v[vgprValuB_X1_I0+1], v[vgprLocalReadAddrB] offset:64 // L -> Reg lro=0 swapByteOffset=0 ti=128 vIdx=0 rIdx=0 oIdx=0 buffer=1 iui=0


/* local read inc a */

s_mov_b32 s56, 0x8                                 // inc
_v_add_co_u32 v[vgprLocalReadAddrA], vcc, s56, v[vgprLocalReadAddrA] // lrA += 8 (LSU*bpe)


/* local read inc b */

s_mov_b32 s56, 0x8                                 // inc
_v_add_co_u32 v[vgprLocalReadAddrB], vcc, s56, v[vgprLocalReadAddrB] // lrB += 8 (LSU*bpe)

s_waitcnt lgkmcnt(0)                               // lgkmcnt=0 vmcnt=-14wait for local read


	;; [unrolled: 1-line block ×3, first 2 shown]
/* tail loop mfma iter 1: numReadsIterCoalescedA=1, numReadsIterCoalescedB=1 */
v_and_b32 v31, 63, v[vgprSerial]                   // v31 = v[vgprSerial] % 64
v_lshrrev_b32 v31, 5, v31                          // v31 = v31 / 32
v_lshlrev_b32 v31, 0x1, v31                        // v31 = v31 * 2
v_cmp_ge_i32 s[60:61], v31, s[sgprLoopCounterL]    // check K index >= Size L
v_cndmask_b32 v[vgprValuA_X1_I0+0+0+0+0], v[vgprValuA_X1_I0+0+0+0+0], 0x0, s[60:61] // set 0 if K_idx >= sizeL
v_cndmask_b32 v[vgprValuA_X1_I0+1+0+0+0], v[vgprValuA_X1_I0+1+0+0+0], 0x0, s[60:61] // set 0 if K_idx >= sizeL
v_cndmask_b32 v[vgprValuB_X1_I0+0+0+0+0], v[vgprValuB_X1_I0+0+0+0+0], 0x0, s[60:61] // set 0 if K_idx >= sizeL
v_cndmask_b32 v[vgprValuB_X1_I0+1+0+0+0], v[vgprValuB_X1_I0+1+0+0+0], 0x0, s[60:61] // set 0 if K_idx >= sizeL
_v_sub_u32 v31, s[sgprLoopCounterL], v31           // get distance between size and k index
v_cmp_lt_i32 s[60:61], v31, 2                      // set partial 0 if distance less than input per thread
s_and_b32 s62, s[sgprLoopCounterL], 1              // get inputs for edge thread
s_sub_u32 s62, 2, s62                              // use shift to fill 0 for outside element
s_lshl_b32 s62, s62, 4                             // use shift to fill 0 for outside element
v_mov_b32 v32, -1                                  // set 0xffffffff
v_lshrrev_b32 v32, s62, v32                        // rshift mask for partial k
v_cndmask_b32 v32, -1, v32, s[60:61]               // select shifted mask for partial k
v_and_b32 v[vgprValuA_X1_I0+0+0+0+0], v[vgprValuA_X1_I0+0+0+0+0], v32 // 
v_and_b32 v[vgprValuA_X1_I0+1+0+0+0], v[vgprValuA_X1_I0+1+0+0+0], v32 // 
v_and_b32 v[vgprValuB_X1_I0+0+0+0+0], v[vgprValuB_X1_I0+0+0+0+0], v32 // 
v_and_b32 v[vgprValuB_X1_I0+1+0+0+0], v[vgprValuB_X1_I0+1+0+0+0], v32 // 
s_nop 1
v_mfma_f32_32x32x4bf16 a[0+0:15+0], v[vgprValuA_X1_I0+0+0+0], v[vgprValuB_X1_I0+0+0+0], a[0:15]
v_mfma_f32_32x32x4bf16 a[16+0:31+0], v[vgprValuA_X1_I0+1+0+0], v[vgprValuB_X1_I0+0+0+0], a[16:31]
	;; [unrolled: 1-line block ×4, first 2 shown]


/* closeLoop loopL finalLoop=0 tailLoop=1 */
s_sub_i32 s[sgprLoopCounterL], s[sgprLoopCounterL], 0x4 // dec counterL (tailLoop)
s_add_u32 s[sgprOrigLoopCounter], s[sgprOrigLoopCounter], 0x4 // inc counterL
s_cmp_le_i32 s[sgprLoopCounterL], 0x0              // counterL<=0
s_cbranch_scc1 TailLoopEndL_7                      // exit LoopL


/* tail loop unroll iter 2 */


/* local read a */

_ds_load_b32 v[vgprValuA_X0_I0+0], v[vgprLocalReadAddrA] offset:0 // L -> Reg lro=0 swapByteOffset=0 ti=128 vIdx=0 rIdx=0 oIdx=0 buffer=0 iui=0
_ds_load_b32 v[vgprValuA_X0_I0+1], v[vgprLocalReadAddrA] offset:64 // L -> Reg lro=0 swapByteOffset=0 ti=128 vIdx=0 rIdx=0 oIdx=0 buffer=0 iui=0


/* local read b */

_ds_load_b32 v[vgprValuB_X0_I0+0], v[vgprLocalReadAddrB] offset:0 // L -> Reg lro=0 swapByteOffset=0 ti=128 vIdx=0 rIdx=0 oIdx=0 buffer=0 iui=0
_ds_load_b32 v[vgprValuB_X0_I0+1], v[vgprLocalReadAddrB] offset:64 // L -> Reg lro=0 swapByteOffset=0 ti=128 vIdx=0 rIdx=0 oIdx=0 buffer=0 iui=0


/* local read inc a */

s_mov_b32 s56, 0x8                                 // inc
_v_add_co_u32 v[vgprLocalReadAddrA], vcc, s56, v[vgprLocalReadAddrA] // lrA += 8 (LSU*bpe)


/* local read inc b */

s_mov_b32 s56, 0x8                                 // inc
_v_add_co_u32 v[vgprLocalReadAddrB], vcc, s56, v[vgprLocalReadAddrB] // lrB += 8 (LSU*bpe)

s_waitcnt lgkmcnt(0)                               // lgkmcnt=0 vmcnt=-14wait for local read


	;; [unrolled: 1-line block ×3, first 2 shown]
/* tail loop mfma iter 2: numReadsIterCoalescedA=1, numReadsIterCoalescedB=1 */
v_and_b32 v31, 63, v[vgprSerial]                   // v31 = v[vgprSerial] % 64
v_lshrrev_b32 v31, 5, v31                          // v31 = v31 / 32
v_lshlrev_b32 v31, 0x1, v31                        // v31 = v31 * 2
v_cmp_ge_i32 s[60:61], v31, s[sgprLoopCounterL]    // check K index >= Size L
v_cndmask_b32 v[vgprValuA_X0_I0+0+0+0+0], v[vgprValuA_X0_I0+0+0+0+0], 0x0, s[60:61] // set 0 if K_idx >= sizeL
v_cndmask_b32 v[vgprValuA_X0_I0+1+0+0+0], v[vgprValuA_X0_I0+1+0+0+0], 0x0, s[60:61] // set 0 if K_idx >= sizeL
v_cndmask_b32 v[vgprValuB_X0_I0+0+0+0+0], v[vgprValuB_X0_I0+0+0+0+0], 0x0, s[60:61] // set 0 if K_idx >= sizeL
v_cndmask_b32 v[vgprValuB_X0_I0+1+0+0+0], v[vgprValuB_X0_I0+1+0+0+0], 0x0, s[60:61] // set 0 if K_idx >= sizeL
_v_sub_u32 v31, s[sgprLoopCounterL], v31           // get distance between size and k index
v_cmp_lt_i32 s[60:61], v31, 2                      // set partial 0 if distance less than input per thread
s_and_b32 s62, s[sgprLoopCounterL], 1              // get inputs for edge thread
s_sub_u32 s62, 2, s62                              // use shift to fill 0 for outside element
s_lshl_b32 s62, s62, 4                             // use shift to fill 0 for outside element
v_mov_b32 v32, -1                                  // set 0xffffffff
v_lshrrev_b32 v32, s62, v32                        // rshift mask for partial k
v_cndmask_b32 v32, -1, v32, s[60:61]               // select shifted mask for partial k
v_and_b32 v[vgprValuA_X0_I0+0+0+0+0], v[vgprValuA_X0_I0+0+0+0+0], v32 // 
v_and_b32 v[vgprValuA_X0_I0+1+0+0+0], v[vgprValuA_X0_I0+1+0+0+0], v32 // 
v_and_b32 v[vgprValuB_X0_I0+0+0+0+0], v[vgprValuB_X0_I0+0+0+0+0], v32 // 
v_and_b32 v[vgprValuB_X0_I0+1+0+0+0], v[vgprValuB_X0_I0+1+0+0+0], v32 // 
s_nop 1
v_mfma_f32_32x32x4bf16 a[0+0:15+0], v[vgprValuA_X0_I0+0+0+0], v[vgprValuB_X0_I0+0+0+0], a[0:15]
v_mfma_f32_32x32x4bf16 a[16+0:31+0], v[vgprValuA_X0_I0+1+0+0], v[vgprValuB_X0_I0+0+0+0], a[16:31]
	;; [unrolled: 1-line block ×4, first 2 shown]


/* closeLoop loopL finalLoop=0 tailLoop=1 */
s_sub_i32 s[sgprLoopCounterL], s[sgprLoopCounterL], 0x4 // dec counterL (tailLoop)
s_add_u32 s[sgprOrigLoopCounter], s[sgprOrigLoopCounter], 0x4 // inc counterL
s_cmp_le_i32 s[sgprLoopCounterL], 0x0              // counterL<=0
s_cbranch_scc1 TailLoopEndL_7                      // exit LoopL


/* tail loop unroll iter 3 */


/* local read a */

_ds_load_b32 v[vgprValuA_X1_I0+0], v[vgprLocalReadAddrA] offset:0 // L -> Reg lro=0 swapByteOffset=0 ti=128 vIdx=0 rIdx=0 oIdx=0 buffer=1 iui=0
_ds_load_b32 v[vgprValuA_X1_I0+1], v[vgprLocalReadAddrA] offset:64 // L -> Reg lro=0 swapByteOffset=0 ti=128 vIdx=0 rIdx=0 oIdx=0 buffer=1 iui=0


/* local read b */

_ds_load_b32 v[vgprValuB_X1_I0+0], v[vgprLocalReadAddrB] offset:0 // L -> Reg lro=0 swapByteOffset=0 ti=128 vIdx=0 rIdx=0 oIdx=0 buffer=1 iui=0
_ds_load_b32 v[vgprValuB_X1_I0+1], v[vgprLocalReadAddrB] offset:64 // L -> Reg lro=0 swapByteOffset=0 ti=128 vIdx=0 rIdx=0 oIdx=0 buffer=1 iui=0


/* local read inc a */

s_mov_b32 s56, 0x8                                 // inc
_v_add_co_u32 v[vgprLocalReadAddrA], vcc, s56, v[vgprLocalReadAddrA] // lrA += 8 (LSU*bpe)


/* local read inc b */

s_mov_b32 s56, 0x8                                 // inc
_v_add_co_u32 v[vgprLocalReadAddrB], vcc, s56, v[vgprLocalReadAddrB] // lrB += 8 (LSU*bpe)

s_waitcnt lgkmcnt(0)                               // lgkmcnt=0 vmcnt=-14wait for local read


	;; [unrolled: 1-line block ×3, first 2 shown]
/* tail loop mfma iter 3: numReadsIterCoalescedA=1, numReadsIterCoalescedB=1 */
v_and_b32 v31, 63, v[vgprSerial]                   // v31 = v[vgprSerial] % 64
v_lshrrev_b32 v31, 5, v31                          // v31 = v31 / 32
v_lshlrev_b32 v31, 0x1, v31                        // v31 = v31 * 2
v_cmp_ge_i32 s[60:61], v31, s[sgprLoopCounterL]    // check K index >= Size L
v_cndmask_b32 v[vgprValuA_X1_I0+0+0+0+0], v[vgprValuA_X1_I0+0+0+0+0], 0x0, s[60:61] // set 0 if K_idx >= sizeL
v_cndmask_b32 v[vgprValuA_X1_I0+1+0+0+0], v[vgprValuA_X1_I0+1+0+0+0], 0x0, s[60:61] // set 0 if K_idx >= sizeL
v_cndmask_b32 v[vgprValuB_X1_I0+0+0+0+0], v[vgprValuB_X1_I0+0+0+0+0], 0x0, s[60:61] // set 0 if K_idx >= sizeL
v_cndmask_b32 v[vgprValuB_X1_I0+1+0+0+0], v[vgprValuB_X1_I0+1+0+0+0], 0x0, s[60:61] // set 0 if K_idx >= sizeL
_v_sub_u32 v31, s[sgprLoopCounterL], v31           // get distance between size and k index
v_cmp_lt_i32 s[60:61], v31, 2                      // set partial 0 if distance less than input per thread
s_and_b32 s62, s[sgprLoopCounterL], 1              // get inputs for edge thread
s_sub_u32 s62, 2, s62                              // use shift to fill 0 for outside element
s_lshl_b32 s62, s62, 4                             // use shift to fill 0 for outside element
v_mov_b32 v32, -1                                  // set 0xffffffff
v_lshrrev_b32 v32, s62, v32                        // rshift mask for partial k
v_cndmask_b32 v32, -1, v32, s[60:61]               // select shifted mask for partial k
v_and_b32 v[vgprValuA_X1_I0+0+0+0+0], v[vgprValuA_X1_I0+0+0+0+0], v32 // 
v_and_b32 v[vgprValuA_X1_I0+1+0+0+0], v[vgprValuA_X1_I0+1+0+0+0], v32 // 
v_and_b32 v[vgprValuB_X1_I0+0+0+0+0], v[vgprValuB_X1_I0+0+0+0+0], v32 // 
v_and_b32 v[vgprValuB_X1_I0+1+0+0+0], v[vgprValuB_X1_I0+1+0+0+0], v32 // 
s_nop 1
v_mfma_f32_32x32x4bf16 a[0+0:15+0], v[vgprValuA_X1_I0+0+0+0], v[vgprValuB_X1_I0+0+0+0], a[0:15]
v_mfma_f32_32x32x4bf16 a[16+0:31+0], v[vgprValuA_X1_I0+1+0+0], v[vgprValuB_X1_I0+0+0+0], a[16:31]
	;; [unrolled: 1-line block ×4, first 2 shown]


/* closeLoop loopL finalLoop=0 tailLoop=1 */
s_sub_i32 s[sgprLoopCounterL], s[sgprLoopCounterL], 0x4 // dec counterL (tailLoop)
s_add_u32 s[sgprOrigLoopCounter], s[sgprOrigLoopCounter], 0x4 // inc counterL
s_cmp_le_i32 s[sgprLoopCounterL], 0x0              // counterL<=0
s_cbranch_scc1 TailLoopEndL_7                      // exit LoopL


/* tail loop unroll iter 4 */


/* local read a */

_ds_load_b32 v[vgprValuA_X0_I0+0], v[vgprLocalReadAddrA] offset:0 // L -> Reg lro=0 swapByteOffset=0 ti=128 vIdx=0 rIdx=0 oIdx=0 buffer=0 iui=0
_ds_load_b32 v[vgprValuA_X0_I0+1], v[vgprLocalReadAddrA] offset:64 // L -> Reg lro=0 swapByteOffset=0 ti=128 vIdx=0 rIdx=0 oIdx=0 buffer=0 iui=0


/* local read b */

_ds_load_b32 v[vgprValuB_X0_I0+0], v[vgprLocalReadAddrB] offset:0 // L -> Reg lro=0 swapByteOffset=0 ti=128 vIdx=0 rIdx=0 oIdx=0 buffer=0 iui=0
_ds_load_b32 v[vgprValuB_X0_I0+1], v[vgprLocalReadAddrB] offset:64 // L -> Reg lro=0 swapByteOffset=0 ti=128 vIdx=0 rIdx=0 oIdx=0 buffer=0 iui=0


/* local read inc a */

s_mov_b32 s56, 0x8                                 // inc
_v_add_co_u32 v[vgprLocalReadAddrA], vcc, s56, v[vgprLocalReadAddrA] // lrA += 8 (LSU*bpe)


/* local read inc b */

s_mov_b32 s56, 0x8                                 // inc
_v_add_co_u32 v[vgprLocalReadAddrB], vcc, s56, v[vgprLocalReadAddrB] // lrB += 8 (LSU*bpe)

s_waitcnt lgkmcnt(0)                               // lgkmcnt=0 vmcnt=-14wait for local read


	;; [unrolled: 1-line block ×3, first 2 shown]
/* tail loop mfma iter 4: numReadsIterCoalescedA=1, numReadsIterCoalescedB=1 */
v_and_b32 v31, 63, v[vgprSerial]                   // v31 = v[vgprSerial] % 64
v_lshrrev_b32 v31, 5, v31                          // v31 = v31 / 32
v_lshlrev_b32 v31, 0x1, v31                        // v31 = v31 * 2
v_cmp_ge_i32 s[60:61], v31, s[sgprLoopCounterL]    // check K index >= Size L
v_cndmask_b32 v[vgprValuA_X0_I0+0+0+0+0], v[vgprValuA_X0_I0+0+0+0+0], 0x0, s[60:61] // set 0 if K_idx >= sizeL
v_cndmask_b32 v[vgprValuA_X0_I0+1+0+0+0], v[vgprValuA_X0_I0+1+0+0+0], 0x0, s[60:61] // set 0 if K_idx >= sizeL
v_cndmask_b32 v[vgprValuB_X0_I0+0+0+0+0], v[vgprValuB_X0_I0+0+0+0+0], 0x0, s[60:61] // set 0 if K_idx >= sizeL
v_cndmask_b32 v[vgprValuB_X0_I0+1+0+0+0], v[vgprValuB_X0_I0+1+0+0+0], 0x0, s[60:61] // set 0 if K_idx >= sizeL
_v_sub_u32 v31, s[sgprLoopCounterL], v31           // get distance between size and k index
v_cmp_lt_i32 s[60:61], v31, 2                      // set partial 0 if distance less than input per thread
s_and_b32 s62, s[sgprLoopCounterL], 1              // get inputs for edge thread
s_sub_u32 s62, 2, s62                              // use shift to fill 0 for outside element
s_lshl_b32 s62, s62, 4                             // use shift to fill 0 for outside element
v_mov_b32 v32, -1                                  // set 0xffffffff
v_lshrrev_b32 v32, s62, v32                        // rshift mask for partial k
v_cndmask_b32 v32, -1, v32, s[60:61]               // select shifted mask for partial k
v_and_b32 v[vgprValuA_X0_I0+0+0+0+0], v[vgprValuA_X0_I0+0+0+0+0], v32 // 
v_and_b32 v[vgprValuA_X0_I0+1+0+0+0], v[vgprValuA_X0_I0+1+0+0+0], v32 // 
v_and_b32 v[vgprValuB_X0_I0+0+0+0+0], v[vgprValuB_X0_I0+0+0+0+0], v32 // 
v_and_b32 v[vgprValuB_X0_I0+1+0+0+0], v[vgprValuB_X0_I0+1+0+0+0], v32 // 
s_nop 1
v_mfma_f32_32x32x4bf16 a[0+0:15+0], v[vgprValuA_X0_I0+0+0+0], v[vgprValuB_X0_I0+0+0+0], a[0:15]
v_mfma_f32_32x32x4bf16 a[16+0:31+0], v[vgprValuA_X0_I0+1+0+0], v[vgprValuB_X0_I0+0+0+0], a[16:31]
	;; [unrolled: 1-line block ×4, first 2 shown]


/* closeLoop loopL finalLoop=0 tailLoop=1 */
s_sub_i32 s[sgprLoopCounterL], s[sgprLoopCounterL], 0x4 // dec counterL (tailLoop)
s_add_u32 s[sgprOrigLoopCounter], s[sgprOrigLoopCounter], 0x4 // inc counterL
s_cmp_le_i32 s[sgprLoopCounterL], 0x0              // counterL<=0
s_cbranch_scc1 TailLoopEndL_7                      // exit LoopL


/* tail loop unroll iter 5 */


/* local read a */

_ds_load_b32 v[vgprValuA_X1_I0+0], v[vgprLocalReadAddrA] offset:0 // L -> Reg lro=0 swapByteOffset=0 ti=128 vIdx=0 rIdx=0 oIdx=0 buffer=1 iui=0
_ds_load_b32 v[vgprValuA_X1_I0+1], v[vgprLocalReadAddrA] offset:64 // L -> Reg lro=0 swapByteOffset=0 ti=128 vIdx=0 rIdx=0 oIdx=0 buffer=1 iui=0


/* local read b */

_ds_load_b32 v[vgprValuB_X1_I0+0], v[vgprLocalReadAddrB] offset:0 // L -> Reg lro=0 swapByteOffset=0 ti=128 vIdx=0 rIdx=0 oIdx=0 buffer=1 iui=0
_ds_load_b32 v[vgprValuB_X1_I0+1], v[vgprLocalReadAddrB] offset:64 // L -> Reg lro=0 swapByteOffset=0 ti=128 vIdx=0 rIdx=0 oIdx=0 buffer=1 iui=0


/* local read inc a */

s_mov_b32 s56, 0x8                                 // inc
_v_add_co_u32 v[vgprLocalReadAddrA], vcc, s56, v[vgprLocalReadAddrA] // lrA += 8 (LSU*bpe)


/* local read inc b */

s_mov_b32 s56, 0x8                                 // inc
_v_add_co_u32 v[vgprLocalReadAddrB], vcc, s56, v[vgprLocalReadAddrB] // lrB += 8 (LSU*bpe)

s_waitcnt lgkmcnt(0)                               // lgkmcnt=0 vmcnt=-14wait for local read


	;; [unrolled: 1-line block ×3, first 2 shown]
/* tail loop mfma iter 5: numReadsIterCoalescedA=1, numReadsIterCoalescedB=1 */
v_and_b32 v31, 63, v[vgprSerial]                   // v31 = v[vgprSerial] % 64
v_lshrrev_b32 v31, 5, v31                          // v31 = v31 / 32
v_lshlrev_b32 v31, 0x1, v31                        // v31 = v31 * 2
v_cmp_ge_i32 s[60:61], v31, s[sgprLoopCounterL]    // check K index >= Size L
v_cndmask_b32 v[vgprValuA_X1_I0+0+0+0+0], v[vgprValuA_X1_I0+0+0+0+0], 0x0, s[60:61] // set 0 if K_idx >= sizeL
v_cndmask_b32 v[vgprValuA_X1_I0+1+0+0+0], v[vgprValuA_X1_I0+1+0+0+0], 0x0, s[60:61] // set 0 if K_idx >= sizeL
v_cndmask_b32 v[vgprValuB_X1_I0+0+0+0+0], v[vgprValuB_X1_I0+0+0+0+0], 0x0, s[60:61] // set 0 if K_idx >= sizeL
v_cndmask_b32 v[vgprValuB_X1_I0+1+0+0+0], v[vgprValuB_X1_I0+1+0+0+0], 0x0, s[60:61] // set 0 if K_idx >= sizeL
_v_sub_u32 v31, s[sgprLoopCounterL], v31           // get distance between size and k index
v_cmp_lt_i32 s[60:61], v31, 2                      // set partial 0 if distance less than input per thread
s_and_b32 s62, s[sgprLoopCounterL], 1              // get inputs for edge thread
s_sub_u32 s62, 2, s62                              // use shift to fill 0 for outside element
s_lshl_b32 s62, s62, 4                             // use shift to fill 0 for outside element
v_mov_b32 v32, -1                                  // set 0xffffffff
v_lshrrev_b32 v32, s62, v32                        // rshift mask for partial k
v_cndmask_b32 v32, -1, v32, s[60:61]               // select shifted mask for partial k
v_and_b32 v[vgprValuA_X1_I0+0+0+0+0], v[vgprValuA_X1_I0+0+0+0+0], v32 // 
v_and_b32 v[vgprValuA_X1_I0+1+0+0+0], v[vgprValuA_X1_I0+1+0+0+0], v32 // 
v_and_b32 v[vgprValuB_X1_I0+0+0+0+0], v[vgprValuB_X1_I0+0+0+0+0], v32 // 
v_and_b32 v[vgprValuB_X1_I0+1+0+0+0], v[vgprValuB_X1_I0+1+0+0+0], v32 // 
s_nop 1
v_mfma_f32_32x32x4bf16 a[0+0:15+0], v[vgprValuA_X1_I0+0+0+0], v[vgprValuB_X1_I0+0+0+0], a[0:15]
v_mfma_f32_32x32x4bf16 a[16+0:31+0], v[vgprValuA_X1_I0+1+0+0], v[vgprValuB_X1_I0+0+0+0], a[16:31]
	;; [unrolled: 1-line block ×4, first 2 shown]


/* closeLoop loopL finalLoop=0 tailLoop=1 */
s_sub_i32 s[sgprLoopCounterL], s[sgprLoopCounterL], 0x4 // dec counterL (tailLoop)
s_add_u32 s[sgprOrigLoopCounter], s[sgprOrigLoopCounter], 0x4 // inc counterL
s_cmp_le_i32 s[sgprLoopCounterL], 0x0              // counterL<=0
s_cbranch_scc1 TailLoopEndL_7                      // exit LoopL


/* tail loop unroll iter 6 */


/* local read a */

_ds_load_b32 v[vgprValuA_X0_I0+0], v[vgprLocalReadAddrA] offset:0 // L -> Reg lro=0 swapByteOffset=0 ti=128 vIdx=0 rIdx=0 oIdx=0 buffer=0 iui=0
_ds_load_b32 v[vgprValuA_X0_I0+1], v[vgprLocalReadAddrA] offset:64 // L -> Reg lro=0 swapByteOffset=0 ti=128 vIdx=0 rIdx=0 oIdx=0 buffer=0 iui=0


/* local read b */

_ds_load_b32 v[vgprValuB_X0_I0+0], v[vgprLocalReadAddrB] offset:0 // L -> Reg lro=0 swapByteOffset=0 ti=128 vIdx=0 rIdx=0 oIdx=0 buffer=0 iui=0
_ds_load_b32 v[vgprValuB_X0_I0+1], v[vgprLocalReadAddrB] offset:64 // L -> Reg lro=0 swapByteOffset=0 ti=128 vIdx=0 rIdx=0 oIdx=0 buffer=0 iui=0


/* local read inc a */

s_mov_b32 s56, 0x8                                 // inc
_v_add_co_u32 v[vgprLocalReadAddrA], vcc, s56, v[vgprLocalReadAddrA] // lrA += 8 (LSU*bpe)


/* local read inc b */

s_mov_b32 s56, 0x8                                 // inc
_v_add_co_u32 v[vgprLocalReadAddrB], vcc, s56, v[vgprLocalReadAddrB] // lrB += 8 (LSU*bpe)

s_waitcnt lgkmcnt(0)                               // lgkmcnt=0 vmcnt=-14wait for local read


	;; [unrolled: 1-line block ×3, first 2 shown]
/* tail loop mfma iter 6: numReadsIterCoalescedA=1, numReadsIterCoalescedB=1 */
v_and_b32 v31, 63, v[vgprSerial]                   // v31 = v[vgprSerial] % 64
v_lshrrev_b32 v31, 5, v31                          // v31 = v31 / 32
v_lshlrev_b32 v31, 0x1, v31                        // v31 = v31 * 2
v_cmp_ge_i32 s[60:61], v31, s[sgprLoopCounterL]    // check K index >= Size L
v_cndmask_b32 v[vgprValuA_X0_I0+0+0+0+0], v[vgprValuA_X0_I0+0+0+0+0], 0x0, s[60:61] // set 0 if K_idx >= sizeL
v_cndmask_b32 v[vgprValuA_X0_I0+1+0+0+0], v[vgprValuA_X0_I0+1+0+0+0], 0x0, s[60:61] // set 0 if K_idx >= sizeL
v_cndmask_b32 v[vgprValuB_X0_I0+0+0+0+0], v[vgprValuB_X0_I0+0+0+0+0], 0x0, s[60:61] // set 0 if K_idx >= sizeL
v_cndmask_b32 v[vgprValuB_X0_I0+1+0+0+0], v[vgprValuB_X0_I0+1+0+0+0], 0x0, s[60:61] // set 0 if K_idx >= sizeL
_v_sub_u32 v31, s[sgprLoopCounterL], v31           // get distance between size and k index
v_cmp_lt_i32 s[60:61], v31, 2                      // set partial 0 if distance less than input per thread
s_and_b32 s62, s[sgprLoopCounterL], 1              // get inputs for edge thread
s_sub_u32 s62, 2, s62                              // use shift to fill 0 for outside element
s_lshl_b32 s62, s62, 4                             // use shift to fill 0 for outside element
v_mov_b32 v32, -1                                  // set 0xffffffff
v_lshrrev_b32 v32, s62, v32                        // rshift mask for partial k
v_cndmask_b32 v32, -1, v32, s[60:61]               // select shifted mask for partial k
v_and_b32 v[vgprValuA_X0_I0+0+0+0+0], v[vgprValuA_X0_I0+0+0+0+0], v32 // 
v_and_b32 v[vgprValuA_X0_I0+1+0+0+0], v[vgprValuA_X0_I0+1+0+0+0], v32 // 
v_and_b32 v[vgprValuB_X0_I0+0+0+0+0], v[vgprValuB_X0_I0+0+0+0+0], v32 // 
v_and_b32 v[vgprValuB_X0_I0+1+0+0+0], v[vgprValuB_X0_I0+1+0+0+0], v32 // 
s_nop 1
v_mfma_f32_32x32x4bf16 a[0+0:15+0], v[vgprValuA_X0_I0+0+0+0], v[vgprValuB_X0_I0+0+0+0], a[0:15]
v_mfma_f32_32x32x4bf16 a[16+0:31+0], v[vgprValuA_X0_I0+1+0+0], v[vgprValuB_X0_I0+0+0+0], a[16:31]
	;; [unrolled: 1-line block ×4, first 2 shown]


/* closeLoop loopL finalLoop=0 tailLoop=1 */
s_sub_i32 s[sgprLoopCounterL], s[sgprLoopCounterL], 0x4 // dec counterL (tailLoop)
s_add_u32 s[sgprOrigLoopCounter], s[sgprOrigLoopCounter], 0x4 // inc counterL
s_cmp_le_i32 s[sgprLoopCounterL], 0x0              // counterL<=0
s_cbranch_scc1 TailLoopEndL_7                      // exit LoopL


/* tail loop unroll iter 7 */


/* local read a */

_ds_load_b32 v[vgprValuA_X1_I0+0], v[vgprLocalReadAddrA] offset:0 // L -> Reg lro=0 swapByteOffset=0 ti=128 vIdx=0 rIdx=0 oIdx=0 buffer=1 iui=0
_ds_load_b32 v[vgprValuA_X1_I0+1], v[vgprLocalReadAddrA] offset:64 // L -> Reg lro=0 swapByteOffset=0 ti=128 vIdx=0 rIdx=0 oIdx=0 buffer=1 iui=0


/* local read b */

_ds_load_b32 v[vgprValuB_X1_I0+0], v[vgprLocalReadAddrB] offset:0 // L -> Reg lro=0 swapByteOffset=0 ti=128 vIdx=0 rIdx=0 oIdx=0 buffer=1 iui=0
_ds_load_b32 v[vgprValuB_X1_I0+1], v[vgprLocalReadAddrB] offset:64 // L -> Reg lro=0 swapByteOffset=0 ti=128 vIdx=0 rIdx=0 oIdx=0 buffer=1 iui=0


/* local read inc a */

s_mov_b32 s56, 0x8                                 // inc
_v_add_co_u32 v[vgprLocalReadAddrA], vcc, s56, v[vgprLocalReadAddrA] // lrA += 8 (LSU*bpe)


/* local read inc b */

s_mov_b32 s56, 0x8                                 // inc
_v_add_co_u32 v[vgprLocalReadAddrB], vcc, s56, v[vgprLocalReadAddrB] // lrB += 8 (LSU*bpe)

s_waitcnt lgkmcnt(0)                               // lgkmcnt=0 vmcnt=-14wait for local read


	;; [unrolled: 1-line block ×3, first 2 shown]
/* tail loop mfma iter 7: numReadsIterCoalescedA=1, numReadsIterCoalescedB=1 */
v_and_b32 v31, 63, v[vgprSerial]                   // v31 = v[vgprSerial] % 64
v_lshrrev_b32 v31, 5, v31                          // v31 = v31 / 32
v_lshlrev_b32 v31, 0x1, v31                        // v31 = v31 * 2
v_cmp_ge_i32 s[60:61], v31, s[sgprLoopCounterL]    // check K index >= Size L
v_cndmask_b32 v[vgprValuA_X1_I0+0+0+0+0], v[vgprValuA_X1_I0+0+0+0+0], 0x0, s[60:61] // set 0 if K_idx >= sizeL
v_cndmask_b32 v[vgprValuA_X1_I0+1+0+0+0], v[vgprValuA_X1_I0+1+0+0+0], 0x0, s[60:61] // set 0 if K_idx >= sizeL
v_cndmask_b32 v[vgprValuB_X1_I0+0+0+0+0], v[vgprValuB_X1_I0+0+0+0+0], 0x0, s[60:61] // set 0 if K_idx >= sizeL
v_cndmask_b32 v[vgprValuB_X1_I0+1+0+0+0], v[vgprValuB_X1_I0+1+0+0+0], 0x0, s[60:61] // set 0 if K_idx >= sizeL
_v_sub_u32 v31, s[sgprLoopCounterL], v31           // get distance between size and k index
v_cmp_lt_i32 s[60:61], v31, 2                      // set partial 0 if distance less than input per thread
s_and_b32 s62, s[sgprLoopCounterL], 1              // get inputs for edge thread
s_sub_u32 s62, 2, s62                              // use shift to fill 0 for outside element
s_lshl_b32 s62, s62, 4                             // use shift to fill 0 for outside element
v_mov_b32 v32, -1                                  // set 0xffffffff
v_lshrrev_b32 v32, s62, v32                        // rshift mask for partial k
v_cndmask_b32 v32, -1, v32, s[60:61]               // select shifted mask for partial k
v_and_b32 v[vgprValuA_X1_I0+0+0+0+0], v[vgprValuA_X1_I0+0+0+0+0], v32 // 
v_and_b32 v[vgprValuA_X1_I0+1+0+0+0], v[vgprValuA_X1_I0+1+0+0+0], v32 // 
v_and_b32 v[vgprValuB_X1_I0+0+0+0+0], v[vgprValuB_X1_I0+0+0+0+0], v32 // 
v_and_b32 v[vgprValuB_X1_I0+1+0+0+0], v[vgprValuB_X1_I0+1+0+0+0], v32 // 
s_nop 1
v_mfma_f32_32x32x4bf16 a[0+0:15+0], v[vgprValuA_X1_I0+0+0+0], v[vgprValuB_X1_I0+0+0+0], a[0:15]
v_mfma_f32_32x32x4bf16 a[16+0:31+0], v[vgprValuA_X1_I0+1+0+0], v[vgprValuB_X1_I0+0+0+0], a[16:31]
	;; [unrolled: 1-line block ×4, first 2 shown]


/* closeLoop loopL finalLoop=1 tailLoop=1 */
s_sub_i32 s[sgprLoopCounterL], s[sgprLoopCounterL], 0x4 // dec counterL (tailLoop)
s_add_u32 s[sgprOrigLoopCounter], s[sgprOrigLoopCounter], 0x4 // inc counterL
s_cmp_le_i32 s[sgprLoopCounterL], 0x0              // counterL<=0
s_cbranch_scc0 TailLoopBeginL_6                    // restart LoopL
TailLoopEndL_7:

SkipTailLoopL_8:

Summation_End_28:
/* endSummation: add vgpr [0...28) to pool */
.set NumFullBlocks, UNDEF
.set WgmRemainder1, UNDEF
.set MagicNumberWgmRemainder1, UNDEF
.set ScalarGlobalReadOffsetA, UNDEF
.set ScalarGlobalReadOffsetB, UNDEF

/* Mapping of Acc register -> C Vgpr register */


	;; [unrolled: 1-line block ×3, first 2 shown]
/* not-LocalSplitU: global write indices */

/* computeStoreVgprs */
v_lshrrev_b32 v4, 6, v[vgprSerial]                 // v4 = v[vgprSerial] / 64
v_lshrrev_b32 v1, 1, v4                            // v1 = v4 / 2
v_mul_lo_u32 v1, 0x20, v1                          // wave coordination offset 1
v_and_b32 v5, 31, v[vgprSerial]                    // v5 = v[vgprSerial] % 32
_v_add_lshl_u32 v1, v5, v1, 1                      // coordination 1 = vwb *(wave_id1 + tid1)
v_mul_lo_u32 v2, v1, s[sgprStrideC1J]              //  offset 1
v_mul_lo_u32 v3, v1, s[sgprStrideD1J]              //  offset 1
v_and_b32 v0, 63, v[vgprSerial]                    // v0 = v[vgprSerial] % 64
v_lshrrev_b32 v0, 5, v0                            // v0 = v0 / 32
v_lshlrev_b32 v0, 0x2, v0                          // thread0 * continuous_output
v_and_b32 v5, 1, v4                                // v5 = v4 % 2
v_mul_lo_u32 v5, 0x20, v5                          // wave coordination offset 0
_v_add_lshl_u32 v0, v5, v0, 1                      // coordination 0 = vwa *(wave_id0 + tid0)
s_mul_i32 s53, 128, s[sgprWorkGroup0]              // wgp0 * MT0
_v_add_u32 v0, s53, v0                             // coord 0 = (tid0/MI_m)*4 + waveG0*MIB_m + MT0*SG0
s_mul_i32 s53, 128, s[sgprWorkGroup1]              // wgp1 * MT1
_v_add_u32 v1, s53, v1                             // coord 1 = (tid0%MI_m) + waveG1*MIB_n + MT1*SG1


/* not-LocalSplitU: global write */

s_cmpk_eq_u32 s[sgprBeta], 0x0                     // Beta == 0
s_cbranch_scc0 GW_Beta_43                          // Branch if Beta is not zero

s_and_b32 s54, 127, s[sgprSizeI]                   // s54 = s[sgprSizeI] % 128
s_add_u32 s55, -0x1, s[sgprNumWorkGroups0]         // 
s_cmp_ge_u32 s[sgprWorkGroup0], s55                // wg0 >= nwg0-1 ?
s_cselect_b32 s54, s54, 0                          // set rMT0
s_cmpk_gt_u32 s54, 0x0                             // rMT0 > 0
s_cbranch_scc1 GW_B0_E1_34                         // jump if edges required
s_and_b32 s54, 127, s[sgprSizeJ]                   // s54 = s[sgprSizeJ] % 128
s_add_u32 s55, -0x1, s[sgprNumWorkGroups1]         // 
s_cmp_ge_u32 s[sgprWorkGroup1], s55                // wg1 >= nwg1-1
s_cselect_b32 s54, s54, 0                          // set rMT1
s_cmpk_gt_u32 s54, 0x0                             // rMT1 > 0
s_cbranch_scc1 GW_B0_E1_34                         // jump if edges required
GW_B0_E0_31:

/* edge=0, allocate 2 sgpr. perBatchTmpS=2 perBatchMaskS=0 perElementMaskS=0 elementsPerBatch=60 */
/* optSingleColVgpr=1 optSharedColVgpr=0 optSGPRUsage=BufferLoad_Mask optSrdIncForRow=1 */

/******************************************/
/* Global Write Alpha Batch #0 (d1,d0,vc1,vc0) = */
/*    (0,0,0,0:vw4); (0,0,0,4:vw4); (0,1,0,0:vw4); (0,1,0,4:vw4); (0,2,0,0:vw4); (0,2,0,4:vw4); (0,3,0,0:vw4); (0,3,0,4:vw4); (0,0,1,0:vw4); (0,0,1,4:vw4); (0,1,1,0:vw4); (0,1,1,4:vw4); (0,2,1,0:vw4); (0,2,1,4:vw4); (0,3,1,0:vw4); (0,3,1,4:vw4) */
/******************************************/

/* calc coords, apply mask, and issue loads (if necessary) */
/* (d1,vc1,d0,vc0)=(0,0,0,0) */
/* (d1,vc1,d0,vc0)=(0,0,0,4) */
/* (d1,vc1,d0,vc0)=(0,0,1,0) */
/* (d1,vc1,d0,vc0)=(0,0,1,4) */
/* (d1,vc1,d0,vc0)=(0,0,2,0) */
/* (d1,vc1,d0,vc0)=(0,0,2,4) */
/* (d1,vc1,d0,vc0)=(0,0,3,0) */
/* (d1,vc1,d0,vc0)=(0,0,3,4) */
/* (d1,vc1,d0,vc0)=(0,1,0,0) */
/* (d1,vc1,d0,vc0)=(0,1,0,4) */
/* (d1,vc1,d0,vc0)=(0,1,1,0) */
/* (d1,vc1,d0,vc0)=(0,1,1,4) */
/* (d1,vc1,d0,vc0)=(0,1,2,0) */
/* (d1,vc1,d0,vc0)=(0,1,2,4) */
/* (d1,vc1,d0,vc0)=(0,1,3,0) */
/* (d1,vc1,d0,vc0)=(0,1,3,4) */
_v_add_lshl_u32 v10, v3, v0, 0x1                   // optSingleColVgpr scaleToBpe: sharedAddrVgpr <- cinRowPtr + coord0, scaled by BPE. BSHERE:coord0=0, coord0Vgpr=0
v_accvgpr_read_b32 v[vgprValuC+12], acc0 // copy acc to vreg[0]
v_accvgpr_read_b32 v[vgprValuC+13], acc16 // copy acc to vreg[1]
v_accvgpr_read_b32 v[vgprValuC+14], acc1 // copy acc to vreg[2]
v_accvgpr_read_b32 v[vgprValuC+15], acc17 // copy acc to vreg[3]
v_accvgpr_read_b32 v[vgprValuC+16], acc2 // copy acc to vreg[4]
v_accvgpr_read_b32 v[vgprValuC+17], acc18 // copy acc to vreg[5]
v_accvgpr_read_b32 v[vgprValuC+18], acc3 // copy acc to vreg[6]
v_accvgpr_read_b32 v[vgprValuC+19], acc19 // copy acc to vreg[7]
v_accvgpr_read_b32 v[vgprValuC+20], acc4 // copy acc to vreg[8]
v_accvgpr_read_b32 v[vgprValuC+21], acc20 // copy acc to vreg[9]
v_accvgpr_read_b32 v[vgprValuC+22], acc5 // copy acc to vreg[10]
v_accvgpr_read_b32 v[vgprValuC+23], acc21 // copy acc to vreg[11]
v_accvgpr_read_b32 v[vgprValuC+24], acc6 // copy acc to vreg[12]
v_accvgpr_read_b32 v[vgprValuC+25], acc22 // copy acc to vreg[13]
v_accvgpr_read_b32 v[vgprValuC+26], acc7 // copy acc to vreg[14]
v_accvgpr_read_b32 v[vgprValuC+27], acc23 // copy acc to vreg[15]
v_accvgpr_read_b32 v[vgprValuC+32], acc8 // copy acc to vreg[16]
v_accvgpr_read_b32 v[vgprValuC+33], acc24 // copy acc to vreg[17]
v_accvgpr_read_b32 v[vgprValuC+34], acc9 // copy acc to vreg[18]
v_accvgpr_read_b32 v[vgprValuC+35], acc25 // copy acc to vreg[19]
v_accvgpr_read_b32 v[vgprValuC+36], acc10 // copy acc to vreg[20]
v_accvgpr_read_b32 v[vgprValuC+37], acc26 // copy acc to vreg[21]
v_accvgpr_read_b32 v[vgprValuC+38], acc11 // copy acc to vreg[22]
v_accvgpr_read_b32 v[vgprValuC+39], acc27 // copy acc to vreg[23]
v_accvgpr_read_b32 v[vgprValuC+40], acc12 // copy acc to vreg[24]
v_accvgpr_read_b32 v[vgprValuC+41], acc28 // copy acc to vreg[25]
v_accvgpr_read_b32 v[vgprValuC+42], acc13 // copy acc to vreg[26]
v_accvgpr_read_b32 v[vgprValuC+43], acc29 // copy acc to vreg[27]
v_accvgpr_read_b32 v[vgprValuC+44], acc14 // copy acc to vreg[28]
v_accvgpr_read_b32 v[vgprValuC+45], acc30 // copy acc to vreg[29]
v_accvgpr_read_b32 v[vgprValuC+46], acc15 // copy acc to vreg[30]
v_accvgpr_read_b32 v[vgprValuC+47], acc31 // copy acc to vreg[31]
v_accvgpr_read_b32 v[vgprValuC+48], acc32 // copy acc to vreg[32]
v_accvgpr_read_b32 v[vgprValuC+49], acc48 // copy acc to vreg[33]
v_accvgpr_read_b32 v[vgprValuC+50], acc33 // copy acc to vreg[34]
v_accvgpr_read_b32 v[vgprValuC+51], acc49 // copy acc to vreg[35]
v_accvgpr_read_b32 v[vgprValuC+52], acc34 // copy acc to vreg[36]
v_accvgpr_read_b32 v[vgprValuC+53], acc50 // copy acc to vreg[37]
v_accvgpr_read_b32 v[vgprValuC+54], acc35 // copy acc to vreg[38]
v_accvgpr_read_b32 v[vgprValuC+55], acc51 // copy acc to vreg[39]
v_accvgpr_read_b32 v[vgprValuC+56], acc36 // copy acc to vreg[40]
v_accvgpr_read_b32 v[vgprValuC+57], acc52 // copy acc to vreg[41]
v_accvgpr_read_b32 v[vgprValuC+58], acc37 // copy acc to vreg[42]
v_accvgpr_read_b32 v[vgprValuC+59], acc53 // copy acc to vreg[43]
v_accvgpr_read_b32 v[vgprValuC+60], acc38 // copy acc to vreg[44]
v_accvgpr_read_b32 v[vgprValuC+61], acc54 // copy acc to vreg[45]
v_accvgpr_read_b32 v[vgprValuC+62], acc39 // copy acc to vreg[46]
v_accvgpr_read_b32 v[vgprValuC+63], acc55 // copy acc to vreg[47]
v_accvgpr_read_b32 v[vgprValuC+64], acc40 // copy acc to vreg[48]
v_accvgpr_read_b32 v[vgprValuC+65], acc56 // copy acc to vreg[49]
v_accvgpr_read_b32 v[vgprValuC+66], acc41 // copy acc to vreg[50]
v_accvgpr_read_b32 v[vgprValuC+67], acc57 // copy acc to vreg[51]
v_accvgpr_read_b32 v[vgprValuC+68], acc42 // copy acc to vreg[52]
v_accvgpr_read_b32 v[vgprValuC+69], acc58 // copy acc to vreg[53]
v_accvgpr_read_b32 v[vgprValuC+70], acc43 // copy acc to vreg[54]
v_accvgpr_read_b32 v[vgprValuC+71], acc59 // copy acc to vreg[55]
v_accvgpr_read_b32 v[vgprValuC+72], acc44 // copy acc to vreg[56]
v_accvgpr_read_b32 v[vgprValuC+73], acc60 // copy acc to vreg[57]
v_accvgpr_read_b32 v[vgprValuC+74], acc45 // copy acc to vreg[58]
v_accvgpr_read_b32 v[vgprValuC+75], acc61 // copy acc to vreg[59]
v_accvgpr_read_b32 v[vgprValuC+76], acc46 // copy acc to vreg[60]
v_accvgpr_read_b32 v[vgprValuC+77], acc62 // copy acc to vreg[61]
v_accvgpr_read_b32 v[vgprValuC+78], acc47 // copy acc to vreg[62]
v_accvgpr_read_b32 v[vgprValuC+79], acc63 // copy acc to vreg[63]
s_nop 1                                            // 2 wait states required before reading vgpr

/* rC *= alpha batchElements=[(0, 0, 0, 0), (0, 0, 0, 4), (0, 1, 0, 0), (0, 1, 0, 4), (0, 2, 0, 0), (0, 2, 0, 4), (0, 3, 0, 0), (0, 3, 0, 4), (0, 0, 1, 0), (0, 0, 1, 4), (0, 1, 1, 0), (0, 1, 1, 4), (0, 2, 1, 0), (0, 2, 1, 4), (0, 3, 1, 0), (0, 3, 1, 4)] */
v_mul_f32 v[vgprValuC+12], s[sgprAlpha], v[vgprValuC+12] // *= alpha
v_mul_f32 v[vgprValuC+13], s[sgprAlpha], v[vgprValuC+13] // *= alpha
	;; [unrolled: 1-line block ×64, first 2 shown]

/* apply mask, calc new C and issue writes */
v_mov_b32 v7, 0xffff0000                           // mask for pack two bfloat16 element to 32bit
v_mov_b32 v8, 0x7fff0000                           // fp32 Nan
v_mov_b32 v9, 0x7fff                               // rounding bias for bfloat16
v_cmp_u_f32 s[54:55], v[vgprValuC+12], v[vgprValuC+12] // check Nan
v_bfe_u32 v6, v[vgprValuC+12], 16, 1               // Non-Nan case: store lsb of bf16
v_add3_u32 v6, v[vgprValuC+12], v6, v9             // Non-Nan case: add lsb and the increment for rounding
v_cndmask_b32 v[vgprValuC+12], v6, v8, s[54:55]    // 
v_lshrrev_b32 v[vgprValuC+12], 16, v[vgprValuC+12] // convert C to bf16
v_cmp_u_f32 s[54:55], v[vgprValuC+13], v[vgprValuC+13] // check Nan
v_bfe_u32 v6, v[vgprValuC+13], 16, 1               // Non-Nan case: store lsb of bf16
v_add3_u32 v6, v[vgprValuC+13], v6, v9             // Non-Nan case: add lsb and the increment for rounding
v_cndmask_b32 v[vgprValuC+13], v6, v8, s[54:55]    // 
v_and_or_b32 v12, v[vgprValuC+13], v7, v[vgprValuC+12] // pack two bf16 to dword
v_cmp_u_f32 s[54:55], v[vgprValuC+14], v[vgprValuC+14] // check Nan
v_bfe_u32 v6, v[vgprValuC+14], 16, 1               // Non-Nan case: store lsb of bf16
v_add3_u32 v6, v[vgprValuC+14], v6, v9             // Non-Nan case: add lsb and the increment for rounding
v_cndmask_b32 v[vgprValuC+14], v6, v8, s[54:55]    // 
v_lshrrev_b32 v[vgprValuC+14], 16, v[vgprValuC+14] // convert C to bf16
v_cmp_u_f32 s[54:55], v[vgprValuC+15], v[vgprValuC+15] // check Nan
v_bfe_u32 v6, v[vgprValuC+15], 16, 1               // Non-Nan case: store lsb of bf16
v_add3_u32 v6, v[vgprValuC+15], v6, v9             // Non-Nan case: add lsb and the increment for rounding
v_cndmask_b32 v[vgprValuC+15], v6, v8, s[54:55]    // 
v_and_or_b32 v13, v[vgprValuC+15], v7, v[vgprValuC+14] // pack two bf16 to dword
_buffer_store_b64 v[12:13], v10, s[sgprSrdD:sgprSrdD+3], 0, offen, offset:0 // store D
v_cmp_u_f32 s[54:55], v[vgprValuC+16], v[vgprValuC+16] // check Nan
v_bfe_u32 v6, v[vgprValuC+16], 16, 1               // Non-Nan case: store lsb of bf16
v_add3_u32 v6, v[vgprValuC+16], v6, v9             // Non-Nan case: add lsb and the increment for rounding
v_cndmask_b32 v[vgprValuC+16], v6, v8, s[54:55]    // 
v_lshrrev_b32 v[vgprValuC+16], 16, v[vgprValuC+16] // convert C to bf16
v_cmp_u_f32 s[54:55], v[vgprValuC+17], v[vgprValuC+17] // check Nan
v_bfe_u32 v6, v[vgprValuC+17], 16, 1               // Non-Nan case: store lsb of bf16
v_add3_u32 v6, v[vgprValuC+17], v6, v9             // Non-Nan case: add lsb and the increment for rounding
v_cndmask_b32 v[vgprValuC+17], v6, v8, s[54:55]    // 
v_and_or_b32 v16, v[vgprValuC+17], v7, v[vgprValuC+16] // pack two bf16 to dword
v_cmp_u_f32 s[54:55], v[vgprValuC+18], v[vgprValuC+18] // check Nan
v_bfe_u32 v6, v[vgprValuC+18], 16, 1               // Non-Nan case: store lsb of bf16
v_add3_u32 v6, v[vgprValuC+18], v6, v9             // Non-Nan case: add lsb and the increment for rounding
v_cndmask_b32 v[vgprValuC+18], v6, v8, s[54:55]    // 
v_lshrrev_b32 v[vgprValuC+18], 16, v[vgprValuC+18] // convert C to bf16
v_cmp_u_f32 s[54:55], v[vgprValuC+19], v[vgprValuC+19] // check Nan
v_bfe_u32 v6, v[vgprValuC+19], 16, 1               // Non-Nan case: store lsb of bf16
v_add3_u32 v6, v[vgprValuC+19], v6, v9             // Non-Nan case: add lsb and the increment for rounding
v_cndmask_b32 v[vgprValuC+19], v6, v8, s[54:55]    // 
v_and_or_b32 v17, v[vgprValuC+19], v7, v[vgprValuC+18] // pack two bf16 to dword
_buffer_store_b64 v[16:17], v10, s[sgprSrdD:sgprSrdD+3], 0, offen, offset:8 // store D
	;; [unrolled: 21-line block ×8, first 2 shown]
v_cmp_u_f32 s[54:55], v[vgprValuC+48], v[vgprValuC+48] // check Nan
v_bfe_u32 v6, v[vgprValuC+48], 16, 1               // Non-Nan case: store lsb of bf16
v_add3_u32 v6, v[vgprValuC+48], v6, v9             // Non-Nan case: add lsb and the increment for rounding
v_cndmask_b32 v[vgprValuC+48], v6, v8, s[54:55]    // 
v_lshrrev_b32 v[vgprValuC+48], 16, v[vgprValuC+48] // convert C to bf16
v_cmp_u_f32 s[54:55], v[vgprValuC+49], v[vgprValuC+49] // check Nan
v_bfe_u32 v6, v[vgprValuC+49], 16, 1               // Non-Nan case: store lsb of bf16
v_add3_u32 v6, v[vgprValuC+49], v6, v9             // Non-Nan case: add lsb and the increment for rounding
v_cndmask_b32 v[vgprValuC+49], v6, v8, s[54:55]    // 
v_and_or_b32 v48, v[vgprValuC+49], v7, v[vgprValuC+48] // pack two bf16 to dword
v_cmp_u_f32 s[54:55], v[vgprValuC+50], v[vgprValuC+50] // check Nan
v_bfe_u32 v6, v[vgprValuC+50], 16, 1               // Non-Nan case: store lsb of bf16
v_add3_u32 v6, v[vgprValuC+50], v6, v9             // Non-Nan case: add lsb and the increment for rounding
v_cndmask_b32 v[vgprValuC+50], v6, v8, s[54:55]    // 
v_lshrrev_b32 v[vgprValuC+50], 16, v[vgprValuC+50] // convert C to bf16
v_cmp_u_f32 s[54:55], v[vgprValuC+51], v[vgprValuC+51] // check Nan
v_bfe_u32 v6, v[vgprValuC+51], 16, 1               // Non-Nan case: store lsb of bf16
v_add3_u32 v6, v[vgprValuC+51], v6, v9             // Non-Nan case: add lsb and the increment for rounding
v_cndmask_b32 v[vgprValuC+51], v6, v8, s[54:55]    // 
v_and_or_b32 v49, v[vgprValuC+51], v7, v[vgprValuC+50] // pack two bf16 to dword
s_lshl_b32  s54, s[sgprStrideD1J], 1               // incToNextRow: Scale by BPE
s_add_u32  s[sgprSrdD+0], s[sgprSrdD+0], s54       // incToNextRow: gra SRD += inc(lower)
s_addc_u32  s[sgprSrdD+1], s[sgprSrdD+1], 0        // incToNextRow: gra SRD += inc(upper)
_buffer_store_b64 v[48:49], v10, s[sgprSrdD:sgprSrdD+3], 0, offen, offset:0 // store D
v_cmp_u_f32 s[54:55], v[vgprValuC+52], v[vgprValuC+52] // check Nan
v_bfe_u32 v6, v[vgprValuC+52], 16, 1               // Non-Nan case: store lsb of bf16
v_add3_u32 v6, v[vgprValuC+52], v6, v9             // Non-Nan case: add lsb and the increment for rounding
v_cndmask_b32 v[vgprValuC+52], v6, v8, s[54:55]    // 
v_lshrrev_b32 v[vgprValuC+52], 16, v[vgprValuC+52] // convert C to bf16
v_cmp_u_f32 s[54:55], v[vgprValuC+53], v[vgprValuC+53] // check Nan
v_bfe_u32 v6, v[vgprValuC+53], 16, 1               // Non-Nan case: store lsb of bf16
v_add3_u32 v6, v[vgprValuC+53], v6, v9             // Non-Nan case: add lsb and the increment for rounding
v_cndmask_b32 v[vgprValuC+53], v6, v8, s[54:55]    // 
v_and_or_b32 v52, v[vgprValuC+53], v7, v[vgprValuC+52] // pack two bf16 to dword
v_cmp_u_f32 s[54:55], v[vgprValuC+54], v[vgprValuC+54] // check Nan
v_bfe_u32 v6, v[vgprValuC+54], 16, 1               // Non-Nan case: store lsb of bf16
v_add3_u32 v6, v[vgprValuC+54], v6, v9             // Non-Nan case: add lsb and the increment for rounding
v_cndmask_b32 v[vgprValuC+54], v6, v8, s[54:55]    // 
v_lshrrev_b32 v[vgprValuC+54], 16, v[vgprValuC+54] // convert C to bf16
v_cmp_u_f32 s[54:55], v[vgprValuC+55], v[vgprValuC+55] // check Nan
v_bfe_u32 v6, v[vgprValuC+55], 16, 1               // Non-Nan case: store lsb of bf16
v_add3_u32 v6, v[vgprValuC+55], v6, v9             // Non-Nan case: add lsb and the increment for rounding
v_cndmask_b32 v[vgprValuC+55], v6, v8, s[54:55]    // 
v_and_or_b32 v53, v[vgprValuC+55], v7, v[vgprValuC+54] // pack two bf16 to dword
_buffer_store_b64 v[52:53], v10, s[sgprSrdD:sgprSrdD+3], 0, offen, offset:8 // store D
v_cmp_u_f32 s[54:55], v[vgprValuC+56], v[vgprValuC+56] // check Nan
v_bfe_u32 v6, v[vgprValuC+56], 16, 1               // Non-Nan case: store lsb of bf16
v_add3_u32 v6, v[vgprValuC+56], v6, v9             // Non-Nan case: add lsb and the increment for rounding
v_cndmask_b32 v[vgprValuC+56], v6, v8, s[54:55]    // 
v_lshrrev_b32 v[vgprValuC+56], 16, v[vgprValuC+56] // convert C to bf16
v_cmp_u_f32 s[54:55], v[vgprValuC+57], v[vgprValuC+57] // check Nan
v_bfe_u32 v6, v[vgprValuC+57], 16, 1               // Non-Nan case: store lsb of bf16
v_add3_u32 v6, v[vgprValuC+57], v6, v9             // Non-Nan case: add lsb and the increment for rounding
v_cndmask_b32 v[vgprValuC+57], v6, v8, s[54:55]    // 
v_and_or_b32 v56, v[vgprValuC+57], v7, v[vgprValuC+56] // pack two bf16 to dword
v_cmp_u_f32 s[54:55], v[vgprValuC+58], v[vgprValuC+58] // check Nan
v_bfe_u32 v6, v[vgprValuC+58], 16, 1               // Non-Nan case: store lsb of bf16
v_add3_u32 v6, v[vgprValuC+58], v6, v9             // Non-Nan case: add lsb and the increment for rounding
v_cndmask_b32 v[vgprValuC+58], v6, v8, s[54:55]    // 
v_lshrrev_b32 v[vgprValuC+58], 16, v[vgprValuC+58] // convert C to bf16
v_cmp_u_f32 s[54:55], v[vgprValuC+59], v[vgprValuC+59] // check Nan
v_bfe_u32 v6, v[vgprValuC+59], 16, 1               // Non-Nan case: store lsb of bf16
v_add3_u32 v6, v[vgprValuC+59], v6, v9             // Non-Nan case: add lsb and the increment for rounding
v_cndmask_b32 v[vgprValuC+59], v6, v8, s[54:55]    // 
v_and_or_b32 v57, v[vgprValuC+59], v7, v[vgprValuC+58] // pack two bf16 to dword
_buffer_store_b64 v[56:57], v10, s[sgprSrdD:sgprSrdD+3], 0, offen, offset:32 // store D
v_cmp_u_f32 s[54:55], v[vgprValuC+60], v[vgprValuC+60] // check Nan
v_bfe_u32 v6, v[vgprValuC+60], 16, 1               // Non-Nan case: store lsb of bf16
v_add3_u32 v6, v[vgprValuC+60], v6, v9             // Non-Nan case: add lsb and the increment for rounding
v_cndmask_b32 v[vgprValuC+60], v6, v8, s[54:55]    // 
v_lshrrev_b32 v[vgprValuC+60], 16, v[vgprValuC+60] // convert C to bf16
v_cmp_u_f32 s[54:55], v[vgprValuC+61], v[vgprValuC+61] // check Nan
v_bfe_u32 v6, v[vgprValuC+61], 16, 1               // Non-Nan case: store lsb of bf16
v_add3_u32 v6, v[vgprValuC+61], v6, v9             // Non-Nan case: add lsb and the increment for rounding
v_cndmask_b32 v[vgprValuC+61], v6, v8, s[54:55]    // 
v_and_or_b32 v60, v[vgprValuC+61], v7, v[vgprValuC+60] // pack two bf16 to dword
v_cmp_u_f32 s[54:55], v[vgprValuC+62], v[vgprValuC+62] // check Nan
v_bfe_u32 v6, v[vgprValuC+62], 16, 1               // Non-Nan case: store lsb of bf16
v_add3_u32 v6, v[vgprValuC+62], v6, v9             // Non-Nan case: add lsb and the increment for rounding
v_cndmask_b32 v[vgprValuC+62], v6, v8, s[54:55]    // 
v_lshrrev_b32 v[vgprValuC+62], 16, v[vgprValuC+62] // convert C to bf16
v_cmp_u_f32 s[54:55], v[vgprValuC+63], v[vgprValuC+63] // check Nan
v_bfe_u32 v6, v[vgprValuC+63], 16, 1               // Non-Nan case: store lsb of bf16
v_add3_u32 v6, v[vgprValuC+63], v6, v9             // Non-Nan case: add lsb and the increment for rounding
v_cndmask_b32 v[vgprValuC+63], v6, v8, s[54:55]    // 
v_and_or_b32 v61, v[vgprValuC+63], v7, v[vgprValuC+62] // pack two bf16 to dword
_buffer_store_b64 v[60:61], v10, s[sgprSrdD:sgprSrdD+3], 0, offen, offset:40 // store D
v_cmp_u_f32 s[54:55], v[vgprValuC+64], v[vgprValuC+64] // check Nan
v_bfe_u32 v6, v[vgprValuC+64], 16, 1               // Non-Nan case: store lsb of bf16
v_add3_u32 v6, v[vgprValuC+64], v6, v9             // Non-Nan case: add lsb and the increment for rounding
v_cndmask_b32 v[vgprValuC+64], v6, v8, s[54:55]    // 
v_lshrrev_b32 v[vgprValuC+64], 16, v[vgprValuC+64] // convert C to bf16
v_cmp_u_f32 s[54:55], v[vgprValuC+65], v[vgprValuC+65] // check Nan
v_bfe_u32 v6, v[vgprValuC+65], 16, 1               // Non-Nan case: store lsb of bf16
v_add3_u32 v6, v[vgprValuC+65], v6, v9             // Non-Nan case: add lsb and the increment for rounding
v_cndmask_b32 v[vgprValuC+65], v6, v8, s[54:55]    // 
v_and_or_b32 v64, v[vgprValuC+65], v7, v[vgprValuC+64] // pack two bf16 to dword
v_cmp_u_f32 s[54:55], v[vgprValuC+66], v[vgprValuC+66] // check Nan
v_bfe_u32 v6, v[vgprValuC+66], 16, 1               // Non-Nan case: store lsb of bf16
v_add3_u32 v6, v[vgprValuC+66], v6, v9             // Non-Nan case: add lsb and the increment for rounding
v_cndmask_b32 v[vgprValuC+66], v6, v8, s[54:55]    // 
v_lshrrev_b32 v[vgprValuC+66], 16, v[vgprValuC+66] // convert C to bf16
v_cmp_u_f32 s[54:55], v[vgprValuC+67], v[vgprValuC+67] // check Nan
v_bfe_u32 v6, v[vgprValuC+67], 16, 1               // Non-Nan case: store lsb of bf16
v_add3_u32 v6, v[vgprValuC+67], v6, v9             // Non-Nan case: add lsb and the increment for rounding
v_cndmask_b32 v[vgprValuC+67], v6, v8, s[54:55]    // 
v_and_or_b32 v65, v[vgprValuC+67], v7, v[vgprValuC+66] // pack two bf16 to dword
_buffer_store_b64 v[64:65], v10, s[sgprSrdD:sgprSrdD+3], 0, offen, offset:64 // store D
v_cmp_u_f32 s[54:55], v[vgprValuC+68], v[vgprValuC+68] // check Nan
v_bfe_u32 v6, v[vgprValuC+68], 16, 1               // Non-Nan case: store lsb of bf16
v_add3_u32 v6, v[vgprValuC+68], v6, v9             // Non-Nan case: add lsb and the increment for rounding
v_cndmask_b32 v[vgprValuC+68], v6, v8, s[54:55]    // 
v_lshrrev_b32 v[vgprValuC+68], 16, v[vgprValuC+68] // convert C to bf16
v_cmp_u_f32 s[54:55], v[vgprValuC+69], v[vgprValuC+69] // check Nan
v_bfe_u32 v6, v[vgprValuC+69], 16, 1               // Non-Nan case: store lsb of bf16
v_add3_u32 v6, v[vgprValuC+69], v6, v9             // Non-Nan case: add lsb and the increment for rounding
v_cndmask_b32 v[vgprValuC+69], v6, v8, s[54:55]    // 
v_and_or_b32 v68, v[vgprValuC+69], v7, v[vgprValuC+68] // pack two bf16 to dword
v_cmp_u_f32 s[54:55], v[vgprValuC+70], v[vgprValuC+70] // check Nan
v_bfe_u32 v6, v[vgprValuC+70], 16, 1               // Non-Nan case: store lsb of bf16
v_add3_u32 v6, v[vgprValuC+70], v6, v9             // Non-Nan case: add lsb and the increment for rounding
v_cndmask_b32 v[vgprValuC+70], v6, v8, s[54:55]    // 
v_lshrrev_b32 v[vgprValuC+70], 16, v[vgprValuC+70] // convert C to bf16
v_cmp_u_f32 s[54:55], v[vgprValuC+71], v[vgprValuC+71] // check Nan
v_bfe_u32 v6, v[vgprValuC+71], 16, 1               // Non-Nan case: store lsb of bf16
v_add3_u32 v6, v[vgprValuC+71], v6, v9             // Non-Nan case: add lsb and the increment for rounding
v_cndmask_b32 v[vgprValuC+71], v6, v8, s[54:55]    // 
v_and_or_b32 v69, v[vgprValuC+71], v7, v[vgprValuC+70] // pack two bf16 to dword
_buffer_store_b64 v[68:69], v10, s[sgprSrdD:sgprSrdD+3], 0, offen, offset:72 // store D
v_cmp_u_f32 s[54:55], v[vgprValuC+72], v[vgprValuC+72] // check Nan
v_bfe_u32 v6, v[vgprValuC+72], 16, 1               // Non-Nan case: store lsb of bf16
v_add3_u32 v6, v[vgprValuC+72], v6, v9             // Non-Nan case: add lsb and the increment for rounding
v_cndmask_b32 v[vgprValuC+72], v6, v8, s[54:55]    // 
v_lshrrev_b32 v[vgprValuC+72], 16, v[vgprValuC+72] // convert C to bf16
v_cmp_u_f32 s[54:55], v[vgprValuC+73], v[vgprValuC+73] // check Nan
v_bfe_u32 v6, v[vgprValuC+73], 16, 1               // Non-Nan case: store lsb of bf16
v_add3_u32 v6, v[vgprValuC+73], v6, v9             // Non-Nan case: add lsb and the increment for rounding
v_cndmask_b32 v[vgprValuC+73], v6, v8, s[54:55]    // 
v_and_or_b32 v72, v[vgprValuC+73], v7, v[vgprValuC+72] // pack two bf16 to dword
v_cmp_u_f32 s[54:55], v[vgprValuC+74], v[vgprValuC+74] // check Nan
v_bfe_u32 v6, v[vgprValuC+74], 16, 1               // Non-Nan case: store lsb of bf16
v_add3_u32 v6, v[vgprValuC+74], v6, v9             // Non-Nan case: add lsb and the increment for rounding
v_cndmask_b32 v[vgprValuC+74], v6, v8, s[54:55]    // 
v_lshrrev_b32 v[vgprValuC+74], 16, v[vgprValuC+74] // convert C to bf16
v_cmp_u_f32 s[54:55], v[vgprValuC+75], v[vgprValuC+75] // check Nan
v_bfe_u32 v6, v[vgprValuC+75], 16, 1               // Non-Nan case: store lsb of bf16
v_add3_u32 v6, v[vgprValuC+75], v6, v9             // Non-Nan case: add lsb and the increment for rounding
v_cndmask_b32 v[vgprValuC+75], v6, v8, s[54:55]    // 
v_and_or_b32 v73, v[vgprValuC+75], v7, v[vgprValuC+74] // pack two bf16 to dword
_buffer_store_b64 v[72:73], v10, s[sgprSrdD:sgprSrdD+3], 0, offen, offset:96 // store D
v_cmp_u_f32 s[54:55], v[vgprValuC+76], v[vgprValuC+76] // check Nan
v_bfe_u32 v6, v[vgprValuC+76], 16, 1               // Non-Nan case: store lsb of bf16
v_add3_u32 v6, v[vgprValuC+76], v6, v9             // Non-Nan case: add lsb and the increment for rounding
v_cndmask_b32 v[vgprValuC+76], v6, v8, s[54:55]    // 
v_lshrrev_b32 v[vgprValuC+76], 16, v[vgprValuC+76] // convert C to bf16
v_cmp_u_f32 s[54:55], v[vgprValuC+77], v[vgprValuC+77] // check Nan
v_bfe_u32 v6, v[vgprValuC+77], 16, 1               // Non-Nan case: store lsb of bf16
v_add3_u32 v6, v[vgprValuC+77], v6, v9             // Non-Nan case: add lsb and the increment for rounding
v_cndmask_b32 v[vgprValuC+77], v6, v8, s[54:55]    // 
v_and_or_b32 v76, v[vgprValuC+77], v7, v[vgprValuC+76] // pack two bf16 to dword
v_cmp_u_f32 s[54:55], v[vgprValuC+78], v[vgprValuC+78] // check Nan
v_bfe_u32 v6, v[vgprValuC+78], 16, 1               // Non-Nan case: store lsb of bf16
v_add3_u32 v6, v[vgprValuC+78], v6, v9             // Non-Nan case: add lsb and the increment for rounding
v_cndmask_b32 v[vgprValuC+78], v6, v8, s[54:55]    // 
v_lshrrev_b32 v[vgprValuC+78], 16, v[vgprValuC+78] // convert C to bf16
v_cmp_u_f32 s[54:55], v[vgprValuC+79], v[vgprValuC+79] // check Nan
v_bfe_u32 v6, v[vgprValuC+79], 16, 1               // Non-Nan case: store lsb of bf16
v_add3_u32 v6, v[vgprValuC+79], v6, v9             // Non-Nan case: add lsb and the increment for rounding
v_cndmask_b32 v[vgprValuC+79], v6, v8, s[54:55]    // 
v_and_or_b32 v77, v[vgprValuC+79], v7, v[vgprValuC+78] // pack two bf16 to dword
_buffer_store_b64 v[76:77], v10, s[sgprSrdD:sgprSrdD+3], 0, offen, offset:104 // store D
s_nop 0                                            // 1 wait state required when next inst writes vgprs held by previous dwordx4 store inst
s_branch label_GW_End_42                           // jump to end
GW_B0_E1_34:

/* edge=1, allocate 6 sgpr. perBatchTmpS=4 perBatchMaskS=2 perElementMaskS=0 elementsPerBatch=120 */
/* optSingleColVgpr=0 optSharedColVgpr=0 optSGPRUsage=BufferLoad_Edge_Mask optSrdIncForRow=0 */

/******************************************/
/* Global Write Alpha Edge Batch #0 (d1,d0,vc1,vc0) = */
/*    (0,0,0,0:vw1); (0,0,0,1:vw1); (0,0,0,2:vw1); (0,0,0,3:vw1); (0,0,0,4:vw1); (0,0,0,5:vw1); (0,0,0,6:vw1); (0,0,0,7:vw1); (0,1,0,0:vw1); (0,1,0,1:vw1); (0,1,0,2:vw1); (0,1,0,3:vw1); (0,1,0,4:vw1); (0,1,0,5:vw1); (0,1,0,6:vw1); (0,1,0,7:vw1); (0,2,0,0:vw1); (0,2,0,1:vw1); (0,2,0,2:vw1); (0,2,0,3:vw1); (0,2,0,4:vw1); (0,2,0,5:vw1); (0,2,0,6:vw1); (0,2,0,7:vw1); (0,3,0,0:vw1); (0,3,0,1:vw1); (0,3,0,2:vw1); (0,3,0,3:vw1); (0,3,0,4:vw1); (0,3,0,5:vw1); (0,3,0,6:vw1); (0,3,0,7:vw1); (0,0,1,0:vw1); (0,0,1,1:vw1); (0,0,1,2:vw1); (0,0,1,3:vw1); (0,0,1,4:vw1); (0,0,1,5:vw1); (0,0,1,6:vw1); (0,0,1,7:vw1); (0,1,1,0:vw1); (0,1,1,1:vw1); (0,1,1,2:vw1); (0,1,1,3:vw1); (0,1,1,4:vw1); (0,1,1,5:vw1); (0,1,1,6:vw1); (0,1,1,7:vw1); (0,2,1,0:vw1); (0,2,1,1:vw1); (0,2,1,2:vw1); (0,2,1,3:vw1); (0,2,1,4:vw1); (0,2,1,5:vw1); (0,2,1,6:vw1); (0,2,1,7:vw1); (0,3,1,0:vw1); (0,3,1,1:vw1); (0,3,1,2:vw1); (0,3,1,3:vw1); (0,3,1,4:vw1); (0,3,1,5:vw1); (0,3,1,6:vw1); (0,3,1,7:vw1) */
/******************************************/

/* calc coords, apply mask, and issue loads (if necessary) */
/* (d1,vc1,d0,vc0)=(0,0,0,0) */
v_cmp_lt_u32 s[54:55], v0, s[sgprSizeI]            // coord0 < size0
v_cmp_lt_u32 s[58:59], v1, s[sgprSizeJ]            // coord1 < size1
s_and_b64 s[58:59], s[54:55], s[58:59]             // in0 && in1
_v_add_lshl_u32 v10, v3, v0, 0x1                   // scaleToBpe: accumulate d0 lower and *= bpe into Cin addr
v_cndmask_b32 v10, -1, v10, s[58:59]               // LDD clip if OOB. offset
/* (d1,vc1,d0,vc0)=(0,0,0,1) */
_v_add_co_u32 v4, vcc, v0, 1                       // coord0.1: coord0 += d0*sg0*VW + vc0
v_cmp_lt_u32 s[54:55], v4, s[sgprSizeI]            // coord0 < size0
v_cmp_lt_u32 s[58:59], v1, s[sgprSizeJ]            // coord1 < size1
s_and_b64 s[58:59], s[54:55], s[58:59]             // in0 && in1
_v_add_lshl_u32 v12, v3, v4, 0x1                   // scaleToBpe: accumulate d0 lower and *= bpe into Cin addr
v_cndmask_b32 v12, -1, v12, s[58:59]               // LDD clip if OOB. offset
/* (d1,vc1,d0,vc0)=(0,0,0,2) */
_v_add_co_u32 v4, vcc, v0, 2                       // coord0.1: coord0 += d0*sg0*VW + vc0
	;; [unrolled: 7-line block ×7, first 2 shown]
v_cmp_lt_u32 s[54:55], v4, s[sgprSizeI]            // coord0 < size0
v_cmp_lt_u32 s[58:59], v1, s[sgprSizeJ]            // coord1 < size1
s_and_b64 s[58:59], s[54:55], s[58:59]             // in0 && in1
_v_add_lshl_u32 v24, v3, v4, 0x1                   // scaleToBpe: accumulate d0 lower and *= bpe into Cin addr
v_cndmask_b32 v24, -1, v24, s[58:59]               // LDD clip if OOB. offset
/* (d1,vc1,d0,vc0)=(0,0,1,0) */
_v_add_co_u32 v4, vcc, v0, 16                      // coord0.1: coord0 += d0*sg0*VW + vc0
v_cmp_lt_u32 s[54:55], v4, s[sgprSizeI]            // coord0 < size0
v_cmp_lt_u32 s[58:59], v1, s[sgprSizeJ]            // coord1 < size1
s_and_b64 s[58:59], s[54:55], s[58:59]             // in0 && in1
_v_add_lshl_u32 v26, v3, v4, 0x1                   // scaleToBpe: accumulate d0 lower and *= bpe into Cin addr
v_cndmask_b32 v26, -1, v26, s[58:59]               // LDD clip if OOB. offset
/* (d1,vc1,d0,vc0)=(0,0,1,1) */
_v_add_co_u32 v4, vcc, v0, 17                      // coord0.1: coord0 += d0*sg0*VW + vc0
	;; [unrolled: 7-line block ×24, first 2 shown]
v_cmp_lt_u32 s[54:55], v4, s[sgprSizeI]            // coord0 < size0
v_cmp_lt_u32 s[58:59], v1, s[sgprSizeJ]            // coord1 < size1
s_and_b64 s[58:59], s[54:55], s[58:59]             // in0 && in1
_v_add_lshl_u32 v75, v3, v4, 0x1                   // scaleToBpe: accumulate d0 lower and *= bpe into Cin addr
v_cndmask_b32 v75, -1, v75, s[58:59]               // LDD clip if OOB. offset
/* (d1,vc1,d0,vc0)=(0,1,0,0) */
_v_add_co_u32 v1, vcc, v1, 1                       // coord1.1: coord1Vgpr += d1*sg1*VW + vc1

/* Fix for UseInitialStridesCD, emitAddressSetupCode */
_v_add_u32 v2, v2, s[sgprStrideC1J]                // ROWINC- Move cinRowPtr to next row
_v_add_u32 v3, v3, s[sgprStrideD1J]                // Move coutRowPtr to next row
v_cmp_lt_u32 s[54:55], v0, s[sgprSizeI]            // coord0 < size0
v_cmp_lt_u32 s[58:59], v1, s[sgprSizeJ]            // coord1 < size1
s_and_b64 s[58:59], s[54:55], s[58:59]             // in0 && in1
_v_add_lshl_u32 v77, v3, v0, 0x1                   // scaleToBpe: accumulate d0 lower and *= bpe into Cin addr
v_cndmask_b32 v77, -1, v77, s[58:59]               // LDD clip if OOB. offset
/* (d1,vc1,d0,vc0)=(0,1,0,1) */
_v_add_co_u32 v4, vcc, v0, 1                       // coord0.1: coord0 += d0*sg0*VW + vc0
v_cmp_lt_u32 s[54:55], v4, s[sgprSizeI]            // coord0 < size0
v_cmp_lt_u32 s[58:59], v1, s[sgprSizeJ]            // coord1 < size1
s_and_b64 s[58:59], s[54:55], s[58:59]             // in0 && in1
_v_add_lshl_u32 v79, v3, v4, 0x1                   // scaleToBpe: accumulate d0 lower and *= bpe into Cin addr
v_cndmask_b32 v79, -1, v79, s[58:59]               // LDD clip if OOB. offset
/* (d1,vc1,d0,vc0)=(0,1,0,2) */
_v_add_co_u32 v4, vcc, v0, 2                       // coord0.1: coord0 += d0*sg0*VW + vc0
	;; [unrolled: 7-line block ×7, first 2 shown]
v_cmp_lt_u32 s[54:55], v4, s[sgprSizeI]            // coord0 < size0
v_cmp_lt_u32 s[58:59], v1, s[sgprSizeJ]            // coord1 < size1
s_and_b64 s[58:59], s[54:55], s[58:59]             // in0 && in1
_v_add_lshl_u32 v91, v3, v4, 0x1                   // scaleToBpe: accumulate d0 lower and *= bpe into Cin addr
v_cndmask_b32 v91, -1, v91, s[58:59]               // LDD clip if OOB. offset
/* (d1,vc1,d0,vc0)=(0,1,1,0) */
_v_add_co_u32 v4, vcc, v0, 16                      // coord0.1: coord0 += d0*sg0*VW + vc0
v_cmp_lt_u32 s[54:55], v4, s[sgprSizeI]            // coord0 < size0
v_cmp_lt_u32 s[58:59], v1, s[sgprSizeJ]            // coord1 < size1
s_and_b64 s[58:59], s[54:55], s[58:59]             // in0 && in1
_v_add_lshl_u32 v93, v3, v4, 0x1                   // scaleToBpe: accumulate d0 lower and *= bpe into Cin addr
v_cndmask_b32 v93, -1, v93, s[58:59]               // LDD clip if OOB. offset
/* (d1,vc1,d0,vc0)=(0,1,1,1) */
_v_add_co_u32 v4, vcc, v0, 17                      // coord0.1: coord0 += d0*sg0*VW + vc0
	;; [unrolled: 7-line block ×5, first 2 shown]
v_cmp_lt_u32 s[54:55], v4, s[sgprSizeI]            // coord0 < size0
v_cmp_lt_u32 s[58:59], v1, s[sgprSizeJ]            // coord1 < size1
s_and_b64 s[58:59], s[54:55], s[58:59]             // in0 && in1
_v_add_lshl_u32 v101, v3, v4, 0x1                  // scaleToBpe: accumulate d0 lower and *= bpe into Cin addr
v_cndmask_b32 v101, -1, v101, s[58:59]             // LDD clip if OOB. offset
/* (d1,vc1,d0,vc0)=(0,1,1,5) */
_v_add_co_u32 v4, vcc, v0, 21                      // coord0.1: coord0 += d0*sg0*VW + vc0
v_cmp_lt_u32 s[54:55], v4, s[sgprSizeI]            // coord0 < size0
v_cmp_lt_u32 s[58:59], v1, s[sgprSizeJ]            // coord1 < size1
s_and_b64 s[58:59], s[54:55], s[58:59]             // in0 && in1
_v_add_lshl_u32 v103, v3, v4, 0x1                  // scaleToBpe: accumulate d0 lower and *= bpe into Cin addr
v_cndmask_b32 v103, -1, v103, s[58:59]             // LDD clip if OOB. offset
/* (d1,vc1,d0,vc0)=(0,1,1,6) */
_v_add_co_u32 v4, vcc, v0, 22                      // coord0.1: coord0 += d0*sg0*VW + vc0
	;; [unrolled: 7-line block ×19, first 2 shown]
v_cmp_lt_u32 s[54:55], v4, s[sgprSizeI]            // coord0 < size0
v_cmp_lt_u32 s[58:59], v1, s[sgprSizeJ]            // coord1 < size1
s_and_b64 s[58:59], s[54:55], s[58:59]             // in0 && in1
_v_add_lshl_u32 v139, v3, v4, 0x1                  // scaleToBpe: accumulate d0 lower and *= bpe into Cin addr
v_cndmask_b32 v139, -1, v139, s[58:59]             // LDD clip if OOB. offset
v_accvgpr_read_b32 v[vgprValuC+11], acc0 // copy acc to vreg[0]
v_accvgpr_read_b32 v[vgprValuC+13], acc16 // copy acc to vreg[1]
v_accvgpr_read_b32 v[vgprValuC+15], acc1 // copy acc to vreg[2]
v_accvgpr_read_b32 v[vgprValuC+17], acc17 // copy acc to vreg[3]
v_accvgpr_read_b32 v[vgprValuC+19], acc2 // copy acc to vreg[4]
v_accvgpr_read_b32 v[vgprValuC+21], acc18 // copy acc to vreg[5]
v_accvgpr_read_b32 v[vgprValuC+23], acc3 // copy acc to vreg[6]
v_accvgpr_read_b32 v[vgprValuC+25], acc19 // copy acc to vreg[7]
v_accvgpr_read_b32 v[vgprValuC+27], acc4 // copy acc to vreg[8]
v_accvgpr_read_b32 v[vgprValuC+32], acc20 // copy acc to vreg[9]
v_accvgpr_read_b32 v[vgprValuC+34], acc5 // copy acc to vreg[10]
v_accvgpr_read_b32 v[vgprValuC+36], acc21 // copy acc to vreg[11]
v_accvgpr_read_b32 v[vgprValuC+38], acc6 // copy acc to vreg[12]
v_accvgpr_read_b32 v[vgprValuC+40], acc22 // copy acc to vreg[13]
v_accvgpr_read_b32 v[vgprValuC+42], acc7 // copy acc to vreg[14]
v_accvgpr_read_b32 v[vgprValuC+44], acc23 // copy acc to vreg[15]
v_accvgpr_read_b32 v[vgprValuC+46], acc8 // copy acc to vreg[16]
v_accvgpr_read_b32 v[vgprValuC+48], acc24 // copy acc to vreg[17]
v_accvgpr_read_b32 v[vgprValuC+50], acc9 // copy acc to vreg[18]
v_accvgpr_read_b32 v[vgprValuC+52], acc25 // copy acc to vreg[19]
v_accvgpr_read_b32 v[vgprValuC+54], acc10 // copy acc to vreg[20]
v_accvgpr_read_b32 v[vgprValuC+56], acc26 // copy acc to vreg[21]
v_accvgpr_read_b32 v[vgprValuC+58], acc11 // copy acc to vreg[22]
v_accvgpr_read_b32 v[vgprValuC+60], acc27 // copy acc to vreg[23]
v_accvgpr_read_b32 v[vgprValuC+62], acc12 // copy acc to vreg[24]
v_accvgpr_read_b32 v[vgprValuC+64], acc28 // copy acc to vreg[25]
v_accvgpr_read_b32 v[vgprValuC+66], acc13 // copy acc to vreg[26]
v_accvgpr_read_b32 v[vgprValuC+68], acc29 // copy acc to vreg[27]
v_accvgpr_read_b32 v[vgprValuC+70], acc14 // copy acc to vreg[28]
v_accvgpr_read_b32 v[vgprValuC+72], acc30 // copy acc to vreg[29]
v_accvgpr_read_b32 v[vgprValuC+74], acc15 // copy acc to vreg[30]
v_accvgpr_read_b32 v[vgprValuC+76], acc31 // copy acc to vreg[31]
v_accvgpr_read_b32 v[vgprValuC+78], acc32 // copy acc to vreg[32]
v_accvgpr_read_b32 v[vgprValuC+80], acc48 // copy acc to vreg[33]
v_accvgpr_read_b32 v[vgprValuC+82], acc33 // copy acc to vreg[34]
v_accvgpr_read_b32 v[vgprValuC+84], acc49 // copy acc to vreg[35]
v_accvgpr_read_b32 v[vgprValuC+86], acc34 // copy acc to vreg[36]
v_accvgpr_read_b32 v[vgprValuC+88], acc50 // copy acc to vreg[37]
v_accvgpr_read_b32 v[vgprValuC+90], acc35 // copy acc to vreg[38]
v_accvgpr_read_b32 v[vgprValuC+92], acc51 // copy acc to vreg[39]
v_accvgpr_read_b32 v[vgprValuC+94], acc36 // copy acc to vreg[40]
v_accvgpr_read_b32 v[vgprValuC+96], acc52 // copy acc to vreg[41]
v_accvgpr_read_b32 v[vgprValuC+98], acc37 // copy acc to vreg[42]
v_accvgpr_read_b32 v[vgprValuC+100], acc53 // copy acc to vreg[43]
v_accvgpr_read_b32 v[vgprValuC+102], acc38 // copy acc to vreg[44]
v_accvgpr_read_b32 v[vgprValuC+104], acc54 // copy acc to vreg[45]
v_accvgpr_read_b32 v[vgprValuC+106], acc39 // copy acc to vreg[46]
v_accvgpr_read_b32 v[vgprValuC+108], acc55 // copy acc to vreg[47]
v_accvgpr_read_b32 v[vgprValuC+110], acc40 // copy acc to vreg[48]
v_accvgpr_read_b32 v[vgprValuC+112], acc56 // copy acc to vreg[49]
v_accvgpr_read_b32 v[vgprValuC+114], acc41 // copy acc to vreg[50]
v_accvgpr_read_b32 v[vgprValuC+116], acc57 // copy acc to vreg[51]
v_accvgpr_read_b32 v[vgprValuC+118], acc42 // copy acc to vreg[52]
v_accvgpr_read_b32 v[vgprValuC+120], acc58 // copy acc to vreg[53]
v_accvgpr_read_b32 v[vgprValuC+122], acc43 // copy acc to vreg[54]
v_accvgpr_read_b32 v[vgprValuC+124], acc59 // copy acc to vreg[55]
v_accvgpr_read_b32 v[vgprValuC+126], acc44 // copy acc to vreg[56]
v_accvgpr_read_b32 v[vgprValuC+128], acc60 // copy acc to vreg[57]
v_accvgpr_read_b32 v[vgprValuC+130], acc45 // copy acc to vreg[58]
v_accvgpr_read_b32 v[vgprValuC+132], acc61 // copy acc to vreg[59]
v_accvgpr_read_b32 v[vgprValuC+134], acc46 // copy acc to vreg[60]
v_accvgpr_read_b32 v[vgprValuC+136], acc62 // copy acc to vreg[61]
v_accvgpr_read_b32 v[vgprValuC+138], acc47 // copy acc to vreg[62]
v_accvgpr_read_b32 v[vgprValuC+140], acc63 // copy acc to vreg[63]
s_nop 1                                            // 2 wait states required before reading vgpr

/* rC *= alpha batchElements=[(0, 0, 0, 0), (0, 0, 0, 1), (0, 0, 0, 2), (0, 0, 0, 3), (0, 0, 0, 4), (0, 0, 0, 5), (0, 0, 0, 6), (0, 0, 0, 7), (0, 1, 0, 0), (0, 1, 0, 1), (0, 1, 0, 2), (0, 1, 0, 3), (0, 1, 0, 4), (0, 1, 0, 5), (0, 1, 0, 6), (0, 1, 0, 7), (0, 2, 0, 0), (0, 2, 0, 1), (0, 2, 0, 2), (0, 2, 0, 3), (0, 2, 0, 4), (0, 2, 0, 5), (0, 2, 0, 6), (0, 2, 0, 7), (0, 3, 0, 0), (0, 3, 0, 1), (0, 3, 0, 2), (0, 3, 0, 3), (0, 3, 0, 4), (0, 3, 0, 5), (0, 3, 0, 6), (0, 3, 0, 7), (0, 0, 1, 0), (0, 0, 1, 1), (0, 0, 1, 2), (0, 0, 1, 3), (0, 0, 1, 4), (0, 0, 1, 5), (0, 0, 1, 6), (0, 0, 1, 7), (0, 1, 1, 0), (0, 1, 1, 1), (0, 1, 1, 2), (0, 1, 1, 3), (0, 1, 1, 4), (0, 1, 1, 5), (0, 1, 1, 6), (0, 1, 1, 7), (0, 2, 1, 0), (0, 2, 1, 1), (0, 2, 1, 2), (0, 2, 1, 3), (0, 2, 1, 4), (0, 2, 1, 5), (0, 2, 1, 6), (0, 2, 1, 7), (0, 3, 1, 0), (0, 3, 1, 1), (0, 3, 1, 2), (0, 3, 1, 3), (0, 3, 1, 4), (0, 3, 1, 5), (0, 3, 1, 6), (0, 3, 1, 7)] */
v_mul_f32 v[vgprValuC+11], s[sgprAlpha], v[vgprValuC+11] // *= alpha
v_mul_f32 v[vgprValuC+13], s[sgprAlpha], v[vgprValuC+13] // *= alpha
	;; [unrolled: 1-line block ×64, first 2 shown]

/* apply mask, calc new C and issue writes */
v_mov_b32 v7, 0xffff0000                           // mask for pack two bfloat16 element to 32bit
v_mov_b32 v8, 0x7fff0000                           // fp32 Nan
v_mov_b32 v9, 0x7fff                               // rounding bias for bfloat16
v_cmp_u_f32 s[54:55], v[vgprValuC+11], v[vgprValuC+11] // check Nan
v_bfe_u32 v6, v[vgprValuC+11], 16, 1               // Non-Nan case: store lsb of bf16
v_add3_u32 v6, v[vgprValuC+11], v6, v9             // Non-Nan case: add lsb and the increment for rounding
v_cndmask_b32 v[vgprValuC+11], v6, v8, s[54:55]    // 
v_lshrrev_b32 v[vgprValuC+11], 16, v[vgprValuC+11] // convert C to bf16
_buffer_store_b16 v11, v10, s[sgprSrdD:sgprSrdD+3], 0, offen, offset:0 // store D
v_cmp_u_f32 s[54:55], v[vgprValuC+13], v[vgprValuC+13] // check Nan
v_bfe_u32 v6, v[vgprValuC+13], 16, 1               // Non-Nan case: store lsb of bf16
v_add3_u32 v6, v[vgprValuC+13], v6, v9             // Non-Nan case: add lsb and the increment for rounding
v_cndmask_b32 v[vgprValuC+13], v6, v8, s[54:55]    // 
v_lshrrev_b32 v[vgprValuC+13], 16, v[vgprValuC+13] // convert C to bf16
_buffer_store_b16 v13, v12, s[sgprSrdD:sgprSrdD+3], 0, offen, offset:0 // store D
	;; [unrolled: 6-line block ×43, first 2 shown]
v_cmp_u_f32 s[54:55], v[vgprValuC+100], v[vgprValuC+100] // check Nan
v_bfe_u32 v6, v[vgprValuC+100], 16, 1              // Non-Nan case: store lsb of bf16
v_add3_u32 v6, v[vgprValuC+100], v6, v9            // Non-Nan case: add lsb and the increment for rounding
v_cndmask_b32 v[vgprValuC+100], v6, v8, s[54:55]   // 
v_lshrrev_b32 v[vgprValuC+100], 16, v[vgprValuC+100] // convert C to bf16
_buffer_store_b16 v100, v99, s[sgprSrdD:sgprSrdD+3], 0, offen, offset:0 // store D
v_cmp_u_f32 s[54:55], v[vgprValuC+102], v[vgprValuC+102] // check Nan
v_bfe_u32 v6, v[vgprValuC+102], 16, 1              // Non-Nan case: store lsb of bf16
v_add3_u32 v6, v[vgprValuC+102], v6, v9            // Non-Nan case: add lsb and the increment for rounding
v_cndmask_b32 v[vgprValuC+102], v6, v8, s[54:55]   // 
v_lshrrev_b32 v[vgprValuC+102], 16, v[vgprValuC+102] // convert C to bf16
_buffer_store_b16 v102, v101, s[sgprSrdD:sgprSrdD+3], 0, offen, offset:0 // store D
	;; [unrolled: 6-line block ×21, first 2 shown]
s_nop 0                                            // 1 wait state required when next inst writes vgprs held by previous dwordx4 store inst
s_branch label_GW_End_42                           // jump to end
GW_Beta_43:
s_and_b32 s54, 127, s[sgprSizeI]                   // s54 = s[sgprSizeI] % 128
s_add_u32 s55, -0x1, s[sgprNumWorkGroups0]         // 
s_cmp_ge_u32 s[sgprWorkGroup0], s55                // wg0 >= nwg0-1 ?
s_cselect_b32 s54, s54, 0                          // set rMT0
s_cmpk_gt_u32 s54, 0x0                             // rMT0 > 0
s_cbranch_scc1 GW_B1_E1_41                         // jump if edges required
s_and_b32 s54, 127, s[sgprSizeJ]                   // s54 = s[sgprSizeJ] % 128
s_add_u32 s55, -0x1, s[sgprNumWorkGroups1]         // 
s_cmp_ge_u32 s[sgprWorkGroup1], s55                // wg1 >= nwg1-1
s_cselect_b32 s54, s54, 0                          // set rMT1
s_cmpk_gt_u32 s54, 0x0                             // rMT1 > 0
s_cbranch_scc1 GW_B1_E1_41                         // jump if edges required
GW_B1_E0_38:

/* edge=0, allocate 2 sgpr. perBatchTmpS=2 perBatchMaskS=0 perElementMaskS=0 elementsPerBatch=38 */
/* optSingleColVgpr=1 optSharedColVgpr=0 optSGPRUsage=BufferLoad_Mask optSrdIncForRow=1 */

/******************************************/
/* Global Write Alpha Beta Batch #0 (d1,d0,vc1,vc0) = */
/*    (0,0,0,0:vw4); (0,0,0,4:vw4); (0,1,0,0:vw4); (0,1,0,4:vw4); (0,2,0,0:vw4); (0,2,0,4:vw4); (0,3,0,0:vw4); (0,3,0,4:vw4); (0,0,1,0:vw4); (0,0,1,4:vw4); (0,1,1,0:vw4); (0,1,1,4:vw4); (0,2,1,0:vw4); (0,2,1,4:vw4); (0,3,1,0:vw4); (0,3,1,4:vw4) */
/******************************************/

/* calc coords, apply mask, and issue loads (if necessary) */
/* (d1,vc1,d0,vc0)=(0,0,0,0) */
_v_add_lshl_u32 v11, v2, v0, 0x1                   // optSingleColVgpr scaleToBpe: sharedAddrVgpr <- cinRowPtr + coord0, scaled by BPE. BSHERE:coord0=0, coord0Vgpr=0
_buffer_load_b64 v[12:13], v11, s[sgprSrdC:sgprSrdC+3], 0, offen offset:0 // load C for beta calc
/* (d1,vc1,d0,vc0)=(0,0,0,4) */
_buffer_load_b64 v[14:15], v11, s[sgprSrdC:sgprSrdC+3], 0, offen offset:8 // load C for beta calc
/* (d1,vc1,d0,vc0)=(0,0,1,0) */
_buffer_load_b64 v[24:25], v11, s[sgprSrdC:sgprSrdC+3], 0, offen offset:32 // load C for beta calc
/* (d1,vc1,d0,vc0)=(0,0,1,4) */
_buffer_load_b64 v[26:27], v11, s[sgprSrdC:sgprSrdC+3], 0, offen offset:40 // load C for beta calc
/* (d1,vc1,d0,vc0)=(0,0,2,0) */
_buffer_load_b64 v[40:41], v11, s[sgprSrdC:sgprSrdC+3], 0, offen offset:64 // load C for beta calc
/* (d1,vc1,d0,vc0)=(0,0,2,4) */
_buffer_load_b64 v[42:43], v11, s[sgprSrdC:sgprSrdC+3], 0, offen offset:72 // load C for beta calc
/* (d1,vc1,d0,vc0)=(0,0,3,0) */
_buffer_load_b64 v[52:53], v11, s[sgprSrdC:sgprSrdC+3], 0, offen offset:96 // load C for beta calc
/* (d1,vc1,d0,vc0)=(0,0,3,4) */
_buffer_load_b64 v[54:55], v11, s[sgprSrdC:sgprSrdC+3], 0, offen offset:104 // load C for beta calc
/* (d1,vc1,d0,vc0)=(0,1,0,0) */
s_lshl_b32  s54, s[sgprStrideC1J], 1               // incToNextRow: Scale by BPE
s_add_u32  s[sgprSrdC+0], s[sgprSrdC+0], s54       // incToNextRow: gra SRD += inc(lower)
s_addc_u32  s[sgprSrdC+1], s[sgprSrdC+1], 0        // incToNextRow: gra SRD += inc(upper)
_buffer_load_b64 v[64:65], v11, s[sgprSrdC:sgprSrdC+3], 0, offen offset:0 // load C for beta calc
/* (d1,vc1,d0,vc0)=(0,1,0,4) */
_buffer_load_b64 v[66:67], v11, s[sgprSrdC:sgprSrdC+3], 0, offen offset:8 // load C for beta calc
/* (d1,vc1,d0,vc0)=(0,1,1,0) */
	;; [unrolled: 2-line block ×7, first 2 shown]
_buffer_load_b64 v[102:103], v11, s[sgprSrdC:sgprSrdC+3], 0, offen offset:104 // load C for beta calc
_v_add_lshl_u32 v10, v3, v0, 0x1                   // optSingleColVgpr scaleToBpe: sharedAddrVgpr <- cinRowPtr + coord0, scaled by BPE. BSHERE:coord0=0, coord0Vgpr=0
v_accvgpr_read_b32 v[vgprValuC+16], acc0 // copy acc to vreg[0]
v_accvgpr_read_b32 v[vgprValuC+17], acc16 // copy acc to vreg[1]
v_accvgpr_read_b32 v[vgprValuC+18], acc1 // copy acc to vreg[2]
v_accvgpr_read_b32 v[vgprValuC+19], acc17 // copy acc to vreg[3]
v_accvgpr_read_b32 v[vgprValuC+20], acc2 // copy acc to vreg[4]
v_accvgpr_read_b32 v[vgprValuC+21], acc18 // copy acc to vreg[5]
v_accvgpr_read_b32 v[vgprValuC+22], acc3 // copy acc to vreg[6]
v_accvgpr_read_b32 v[vgprValuC+23], acc19 // copy acc to vreg[7]
v_accvgpr_read_b32 v[vgprValuC+32], acc4 // copy acc to vreg[8]
v_accvgpr_read_b32 v[vgprValuC+33], acc20 // copy acc to vreg[9]
v_accvgpr_read_b32 v[vgprValuC+34], acc5 // copy acc to vreg[10]
v_accvgpr_read_b32 v[vgprValuC+35], acc21 // copy acc to vreg[11]
v_accvgpr_read_b32 v[vgprValuC+36], acc6 // copy acc to vreg[12]
v_accvgpr_read_b32 v[vgprValuC+37], acc22 // copy acc to vreg[13]
v_accvgpr_read_b32 v[vgprValuC+38], acc7 // copy acc to vreg[14]
v_accvgpr_read_b32 v[vgprValuC+39], acc23 // copy acc to vreg[15]
v_accvgpr_read_b32 v[vgprValuC+44], acc8 // copy acc to vreg[16]
v_accvgpr_read_b32 v[vgprValuC+45], acc24 // copy acc to vreg[17]
v_accvgpr_read_b32 v[vgprValuC+46], acc9 // copy acc to vreg[18]
v_accvgpr_read_b32 v[vgprValuC+47], acc25 // copy acc to vreg[19]
v_accvgpr_read_b32 v[vgprValuC+48], acc10 // copy acc to vreg[20]
v_accvgpr_read_b32 v[vgprValuC+49], acc26 // copy acc to vreg[21]
v_accvgpr_read_b32 v[vgprValuC+50], acc11 // copy acc to vreg[22]
v_accvgpr_read_b32 v[vgprValuC+51], acc27 // copy acc to vreg[23]
v_accvgpr_read_b32 v[vgprValuC+56], acc12 // copy acc to vreg[24]
v_accvgpr_read_b32 v[vgprValuC+57], acc28 // copy acc to vreg[25]
v_accvgpr_read_b32 v[vgprValuC+58], acc13 // copy acc to vreg[26]
v_accvgpr_read_b32 v[vgprValuC+59], acc29 // copy acc to vreg[27]
v_accvgpr_read_b32 v[vgprValuC+60], acc14 // copy acc to vreg[28]
v_accvgpr_read_b32 v[vgprValuC+61], acc30 // copy acc to vreg[29]
v_accvgpr_read_b32 v[vgprValuC+62], acc15 // copy acc to vreg[30]
v_accvgpr_read_b32 v[vgprValuC+63], acc31 // copy acc to vreg[31]
v_accvgpr_read_b32 v[vgprValuC+68], acc32 // copy acc to vreg[32]
v_accvgpr_read_b32 v[vgprValuC+69], acc48 // copy acc to vreg[33]
v_accvgpr_read_b32 v[vgprValuC+70], acc33 // copy acc to vreg[34]
v_accvgpr_read_b32 v[vgprValuC+71], acc49 // copy acc to vreg[35]
v_accvgpr_read_b32 v[vgprValuC+72], acc34 // copy acc to vreg[36]
v_accvgpr_read_b32 v[vgprValuC+73], acc50 // copy acc to vreg[37]
v_accvgpr_read_b32 v[vgprValuC+74], acc35 // copy acc to vreg[38]
v_accvgpr_read_b32 v[vgprValuC+75], acc51 // copy acc to vreg[39]
v_accvgpr_read_b32 v[vgprValuC+80], acc36 // copy acc to vreg[40]
v_accvgpr_read_b32 v[vgprValuC+81], acc52 // copy acc to vreg[41]
v_accvgpr_read_b32 v[vgprValuC+82], acc37 // copy acc to vreg[42]
v_accvgpr_read_b32 v[vgprValuC+83], acc53 // copy acc to vreg[43]
v_accvgpr_read_b32 v[vgprValuC+84], acc38 // copy acc to vreg[44]
v_accvgpr_read_b32 v[vgprValuC+85], acc54 // copy acc to vreg[45]
v_accvgpr_read_b32 v[vgprValuC+86], acc39 // copy acc to vreg[46]
v_accvgpr_read_b32 v[vgprValuC+87], acc55 // copy acc to vreg[47]
v_accvgpr_read_b32 v[vgprValuC+92], acc40 // copy acc to vreg[48]
v_accvgpr_read_b32 v[vgprValuC+93], acc56 // copy acc to vreg[49]
v_accvgpr_read_b32 v[vgprValuC+94], acc41 // copy acc to vreg[50]
v_accvgpr_read_b32 v[vgprValuC+95], acc57 // copy acc to vreg[51]
v_accvgpr_read_b32 v[vgprValuC+96], acc42 // copy acc to vreg[52]
v_accvgpr_read_b32 v[vgprValuC+97], acc58 // copy acc to vreg[53]
v_accvgpr_read_b32 v[vgprValuC+98], acc43 // copy acc to vreg[54]
v_accvgpr_read_b32 v[vgprValuC+99], acc59 // copy acc to vreg[55]
v_accvgpr_read_b32 v[vgprValuC+104], acc44 // copy acc to vreg[56]
v_accvgpr_read_b32 v[vgprValuC+105], acc60 // copy acc to vreg[57]
v_accvgpr_read_b32 v[vgprValuC+106], acc45 // copy acc to vreg[58]
v_accvgpr_read_b32 v[vgprValuC+107], acc61 // copy acc to vreg[59]
v_accvgpr_read_b32 v[vgprValuC+108], acc46 // copy acc to vreg[60]
v_accvgpr_read_b32 v[vgprValuC+109], acc62 // copy acc to vreg[61]
v_accvgpr_read_b32 v[vgprValuC+110], acc47 // copy acc to vreg[62]
v_accvgpr_read_b32 v[vgprValuC+111], acc63 // copy acc to vreg[63]
s_nop 1                                            // 2 wait states required before reading vgpr

/* rC *= alpha batchElements=[(0, 0, 0, 0), (0, 0, 0, 4), (0, 1, 0, 0), (0, 1, 0, 4), (0, 2, 0, 0), (0, 2, 0, 4), (0, 3, 0, 0), (0, 3, 0, 4), (0, 0, 1, 0), (0, 0, 1, 4), (0, 1, 1, 0), (0, 1, 1, 4), (0, 2, 1, 0), (0, 2, 1, 4), (0, 3, 1, 0), (0, 3, 1, 4)] */
v_mul_f32 v[vgprValuC+16], s[sgprAlpha], v[vgprValuC+16] // *= alpha
v_mul_f32 v[vgprValuC+17], s[sgprAlpha], v[vgprValuC+17] // *= alpha
	;; [unrolled: 1-line block ×64, first 2 shown]

/* apply mask, calc new C and issue writes */
v_mov_b32 v7, 0xffff0000                           // mask for pack two bfloat16 element to 32bit
v_mov_b32 v8, 0x7fff0000                           // fp32 Nan
v_mov_b32 v9, 0x7fff                               // rounding bias for bfloat16

s_waitcnt vmcnt(15)                                // wait C (interleaved) 15 = 16 - 0 + 0 - 1
v_lshlrev_b32 v4, 16, v12                          // convert bf16 to fp32
_v_mac_f32 v[vgprValuC+16], v4, s[sgprBeta]        // finalSum = sum*alpha + C*beta
v_and_b32 v4, v12, v7                              // convert bf16 to fp32
_v_mac_f32 v[vgprValuC+17], v4, s[sgprBeta]        // finalSum = sum*alpha + C*beta
v_lshlrev_b32 v4, 16, v13                          // convert bf16 to fp32
_v_mac_f32 v[vgprValuC+18], v4, s[sgprBeta]        // finalSum = sum*alpha + C*beta
v_and_b32 v4, v13, v7                              // convert bf16 to fp32
_v_mac_f32 v[vgprValuC+19], v4, s[sgprBeta]        // finalSum = sum*alpha + C*beta
v_cmp_u_f32 s[54:55], v[vgprValuC+16], v[vgprValuC+16] // check Nan
v_bfe_u32 v6, v[vgprValuC+16], 16, 1               // Non-Nan case: store lsb of bf16
v_add3_u32 v6, v[vgprValuC+16], v6, v9             // Non-Nan case: add lsb and the increment for rounding
v_cndmask_b32 v[vgprValuC+16], v6, v8, s[54:55]    // 
v_lshrrev_b32 v[vgprValuC+16], 16, v[vgprValuC+16] // convert C to bf16
v_cmp_u_f32 s[54:55], v[vgprValuC+17], v[vgprValuC+17] // check Nan
v_bfe_u32 v6, v[vgprValuC+17], 16, 1               // Non-Nan case: store lsb of bf16
v_add3_u32 v6, v[vgprValuC+17], v6, v9             // Non-Nan case: add lsb and the increment for rounding
v_cndmask_b32 v[vgprValuC+17], v6, v8, s[54:55]    // 
v_and_or_b32 v16, v[vgprValuC+17], v7, v[vgprValuC+16] // pack two bf16 to dword
v_cmp_u_f32 s[54:55], v[vgprValuC+18], v[vgprValuC+18] // check Nan
v_bfe_u32 v6, v[vgprValuC+18], 16, 1               // Non-Nan case: store lsb of bf16
v_add3_u32 v6, v[vgprValuC+18], v6, v9             // Non-Nan case: add lsb and the increment for rounding
v_cndmask_b32 v[vgprValuC+18], v6, v8, s[54:55]    // 
v_lshrrev_b32 v[vgprValuC+18], 16, v[vgprValuC+18] // convert C to bf16
v_cmp_u_f32 s[54:55], v[vgprValuC+19], v[vgprValuC+19] // check Nan
v_bfe_u32 v6, v[vgprValuC+19], 16, 1               // Non-Nan case: store lsb of bf16
v_add3_u32 v6, v[vgprValuC+19], v6, v9             // Non-Nan case: add lsb and the increment for rounding
v_cndmask_b32 v[vgprValuC+19], v6, v8, s[54:55]    // 
v_and_or_b32 v17, v[vgprValuC+19], v7, v[vgprValuC+18] // pack two bf16 to dword
_buffer_store_b64 v[16:17], v10, s[sgprSrdD:sgprSrdD+3], 0, offen, offset:0 // store D

s_waitcnt vmcnt(15)                                // wait C (interleaved) 15 = 16 - 1 + 1 - 1
v_lshlrev_b32 v4, 16, v14                          // convert bf16 to fp32
_v_mac_f32 v[vgprValuC+20], v4, s[sgprBeta]        // finalSum = sum*alpha + C*beta
v_and_b32 v4, v14, v7                              // convert bf16 to fp32
_v_mac_f32 v[vgprValuC+21], v4, s[sgprBeta]        // finalSum = sum*alpha + C*beta
v_lshlrev_b32 v4, 16, v15                          // convert bf16 to fp32
_v_mac_f32 v[vgprValuC+22], v4, s[sgprBeta]        // finalSum = sum*alpha + C*beta
v_and_b32 v4, v15, v7                              // convert bf16 to fp32
_v_mac_f32 v[vgprValuC+23], v4, s[sgprBeta]        // finalSum = sum*alpha + C*beta
v_cmp_u_f32 s[54:55], v[vgprValuC+20], v[vgprValuC+20] // check Nan
v_bfe_u32 v6, v[vgprValuC+20], 16, 1               // Non-Nan case: store lsb of bf16
v_add3_u32 v6, v[vgprValuC+20], v6, v9             // Non-Nan case: add lsb and the increment for rounding
v_cndmask_b32 v[vgprValuC+20], v6, v8, s[54:55]    // 
v_lshrrev_b32 v[vgprValuC+20], 16, v[vgprValuC+20] // convert C to bf16
v_cmp_u_f32 s[54:55], v[vgprValuC+21], v[vgprValuC+21] // check Nan
v_bfe_u32 v6, v[vgprValuC+21], 16, 1               // Non-Nan case: store lsb of bf16
v_add3_u32 v6, v[vgprValuC+21], v6, v9             // Non-Nan case: add lsb and the increment for rounding
v_cndmask_b32 v[vgprValuC+21], v6, v8, s[54:55]    // 
v_and_or_b32 v20, v[vgprValuC+21], v7, v[vgprValuC+20] // pack two bf16 to dword
v_cmp_u_f32 s[54:55], v[vgprValuC+22], v[vgprValuC+22] // check Nan
v_bfe_u32 v6, v[vgprValuC+22], 16, 1               // Non-Nan case: store lsb of bf16
v_add3_u32 v6, v[vgprValuC+22], v6, v9             // Non-Nan case: add lsb and the increment for rounding
v_cndmask_b32 v[vgprValuC+22], v6, v8, s[54:55]    // 
v_lshrrev_b32 v[vgprValuC+22], 16, v[vgprValuC+22] // convert C to bf16
v_cmp_u_f32 s[54:55], v[vgprValuC+23], v[vgprValuC+23] // check Nan
v_bfe_u32 v6, v[vgprValuC+23], 16, 1               // Non-Nan case: store lsb of bf16
v_add3_u32 v6, v[vgprValuC+23], v6, v9             // Non-Nan case: add lsb and the increment for rounding
v_cndmask_b32 v[vgprValuC+23], v6, v8, s[54:55]    // 
v_and_or_b32 v21, v[vgprValuC+23], v7, v[vgprValuC+22] // pack two bf16 to dword
_buffer_store_b64 v[20:21], v10, s[sgprSrdD:sgprSrdD+3], 0, offen, offset:8 // store D
	;; [unrolled: 31-line block ×8, first 2 shown]

s_waitcnt vmcnt(15)                                // wait C (interleaved) 15 = 16 - 8 + 8 - 1
v_lshlrev_b32 v4, 16, v64                          // convert bf16 to fp32
_v_mac_f32 v[vgprValuC+68], v4, s[sgprBeta]        // finalSum = sum*alpha + C*beta
v_and_b32 v4, v64, v7                              // convert bf16 to fp32
_v_mac_f32 v[vgprValuC+69], v4, s[sgprBeta]        // finalSum = sum*alpha + C*beta
v_lshlrev_b32 v4, 16, v65                          // convert bf16 to fp32
_v_mac_f32 v[vgprValuC+70], v4, s[sgprBeta]        // finalSum = sum*alpha + C*beta
v_and_b32 v4, v65, v7                              // convert bf16 to fp32
_v_mac_f32 v[vgprValuC+71], v4, s[sgprBeta]        // finalSum = sum*alpha + C*beta
v_cmp_u_f32 s[54:55], v[vgprValuC+68], v[vgprValuC+68] // check Nan
v_bfe_u32 v6, v[vgprValuC+68], 16, 1               // Non-Nan case: store lsb of bf16
v_add3_u32 v6, v[vgprValuC+68], v6, v9             // Non-Nan case: add lsb and the increment for rounding
v_cndmask_b32 v[vgprValuC+68], v6, v8, s[54:55]    // 
v_lshrrev_b32 v[vgprValuC+68], 16, v[vgprValuC+68] // convert C to bf16
v_cmp_u_f32 s[54:55], v[vgprValuC+69], v[vgprValuC+69] // check Nan
v_bfe_u32 v6, v[vgprValuC+69], 16, 1               // Non-Nan case: store lsb of bf16
v_add3_u32 v6, v[vgprValuC+69], v6, v9             // Non-Nan case: add lsb and the increment for rounding
v_cndmask_b32 v[vgprValuC+69], v6, v8, s[54:55]    // 
v_and_or_b32 v68, v[vgprValuC+69], v7, v[vgprValuC+68] // pack two bf16 to dword
v_cmp_u_f32 s[54:55], v[vgprValuC+70], v[vgprValuC+70] // check Nan
v_bfe_u32 v6, v[vgprValuC+70], 16, 1               // Non-Nan case: store lsb of bf16
v_add3_u32 v6, v[vgprValuC+70], v6, v9             // Non-Nan case: add lsb and the increment for rounding
v_cndmask_b32 v[vgprValuC+70], v6, v8, s[54:55]    // 
v_lshrrev_b32 v[vgprValuC+70], 16, v[vgprValuC+70] // convert C to bf16
v_cmp_u_f32 s[54:55], v[vgprValuC+71], v[vgprValuC+71] // check Nan
v_bfe_u32 v6, v[vgprValuC+71], 16, 1               // Non-Nan case: store lsb of bf16
v_add3_u32 v6, v[vgprValuC+71], v6, v9             // Non-Nan case: add lsb and the increment for rounding
v_cndmask_b32 v[vgprValuC+71], v6, v8, s[54:55]    // 
v_and_or_b32 v69, v[vgprValuC+71], v7, v[vgprValuC+70] // pack two bf16 to dword
s_lshl_b32  s54, s[sgprStrideD1J], 1               // incToNextRow: Scale by BPE
s_add_u32  s[sgprSrdD+0], s[sgprSrdD+0], s54       // incToNextRow: gra SRD += inc(lower)
s_addc_u32  s[sgprSrdD+1], s[sgprSrdD+1], 0        // incToNextRow: gra SRD += inc(upper)
_buffer_store_b64 v[68:69], v10, s[sgprSrdD:sgprSrdD+3], 0, offen, offset:0 // store D

s_waitcnt vmcnt(15)                                // wait C (interleaved) 15 = 16 - 9 + 9 - 1
v_lshlrev_b32 v4, 16, v66                          // convert bf16 to fp32
_v_mac_f32 v[vgprValuC+72], v4, s[sgprBeta]        // finalSum = sum*alpha + C*beta
v_and_b32 v4, v66, v7                              // convert bf16 to fp32
_v_mac_f32 v[vgprValuC+73], v4, s[sgprBeta]        // finalSum = sum*alpha + C*beta
v_lshlrev_b32 v4, 16, v67                          // convert bf16 to fp32
_v_mac_f32 v[vgprValuC+74], v4, s[sgprBeta]        // finalSum = sum*alpha + C*beta
v_and_b32 v4, v67, v7                              // convert bf16 to fp32
_v_mac_f32 v[vgprValuC+75], v4, s[sgprBeta]        // finalSum = sum*alpha + C*beta
v_cmp_u_f32 s[54:55], v[vgprValuC+72], v[vgprValuC+72] // check Nan
v_bfe_u32 v6, v[vgprValuC+72], 16, 1               // Non-Nan case: store lsb of bf16
v_add3_u32 v6, v[vgprValuC+72], v6, v9             // Non-Nan case: add lsb and the increment for rounding
v_cndmask_b32 v[vgprValuC+72], v6, v8, s[54:55]    // 
v_lshrrev_b32 v[vgprValuC+72], 16, v[vgprValuC+72] // convert C to bf16
v_cmp_u_f32 s[54:55], v[vgprValuC+73], v[vgprValuC+73] // check Nan
v_bfe_u32 v6, v[vgprValuC+73], 16, 1               // Non-Nan case: store lsb of bf16
v_add3_u32 v6, v[vgprValuC+73], v6, v9             // Non-Nan case: add lsb and the increment for rounding
v_cndmask_b32 v[vgprValuC+73], v6, v8, s[54:55]    // 
v_and_or_b32 v72, v[vgprValuC+73], v7, v[vgprValuC+72] // pack two bf16 to dword
v_cmp_u_f32 s[54:55], v[vgprValuC+74], v[vgprValuC+74] // check Nan
v_bfe_u32 v6, v[vgprValuC+74], 16, 1               // Non-Nan case: store lsb of bf16
v_add3_u32 v6, v[vgprValuC+74], v6, v9             // Non-Nan case: add lsb and the increment for rounding
v_cndmask_b32 v[vgprValuC+74], v6, v8, s[54:55]    // 
v_lshrrev_b32 v[vgprValuC+74], 16, v[vgprValuC+74] // convert C to bf16
v_cmp_u_f32 s[54:55], v[vgprValuC+75], v[vgprValuC+75] // check Nan
v_bfe_u32 v6, v[vgprValuC+75], 16, 1               // Non-Nan case: store lsb of bf16
v_add3_u32 v6, v[vgprValuC+75], v6, v9             // Non-Nan case: add lsb and the increment for rounding
v_cndmask_b32 v[vgprValuC+75], v6, v8, s[54:55]    // 
v_and_or_b32 v73, v[vgprValuC+75], v7, v[vgprValuC+74] // pack two bf16 to dword
_buffer_store_b64 v[72:73], v10, s[sgprSrdD:sgprSrdD+3], 0, offen, offset:8 // store D

s_waitcnt vmcnt(15)                                // wait C (interleaved) 15 = 16 - 10 + 10 - 1
v_lshlrev_b32 v4, 16, v76                          // convert bf16 to fp32
_v_mac_f32 v[vgprValuC+80], v4, s[sgprBeta]        // finalSum = sum*alpha + C*beta
v_and_b32 v4, v76, v7                              // convert bf16 to fp32
_v_mac_f32 v[vgprValuC+81], v4, s[sgprBeta]        // finalSum = sum*alpha + C*beta
v_lshlrev_b32 v4, 16, v77                          // convert bf16 to fp32
_v_mac_f32 v[vgprValuC+82], v4, s[sgprBeta]        // finalSum = sum*alpha + C*beta
v_and_b32 v4, v77, v7                              // convert bf16 to fp32
_v_mac_f32 v[vgprValuC+83], v4, s[sgprBeta]        // finalSum = sum*alpha + C*beta
v_cmp_u_f32 s[54:55], v[vgprValuC+80], v[vgprValuC+80] // check Nan
v_bfe_u32 v6, v[vgprValuC+80], 16, 1               // Non-Nan case: store lsb of bf16
v_add3_u32 v6, v[vgprValuC+80], v6, v9             // Non-Nan case: add lsb and the increment for rounding
v_cndmask_b32 v[vgprValuC+80], v6, v8, s[54:55]    // 
v_lshrrev_b32 v[vgprValuC+80], 16, v[vgprValuC+80] // convert C to bf16
v_cmp_u_f32 s[54:55], v[vgprValuC+81], v[vgprValuC+81] // check Nan
v_bfe_u32 v6, v[vgprValuC+81], 16, 1               // Non-Nan case: store lsb of bf16
v_add3_u32 v6, v[vgprValuC+81], v6, v9             // Non-Nan case: add lsb and the increment for rounding
v_cndmask_b32 v[vgprValuC+81], v6, v8, s[54:55]    // 
v_and_or_b32 v80, v[vgprValuC+81], v7, v[vgprValuC+80] // pack two bf16 to dword
v_cmp_u_f32 s[54:55], v[vgprValuC+82], v[vgprValuC+82] // check Nan
v_bfe_u32 v6, v[vgprValuC+82], 16, 1               // Non-Nan case: store lsb of bf16
v_add3_u32 v6, v[vgprValuC+82], v6, v9             // Non-Nan case: add lsb and the increment for rounding
v_cndmask_b32 v[vgprValuC+82], v6, v8, s[54:55]    // 
v_lshrrev_b32 v[vgprValuC+82], 16, v[vgprValuC+82] // convert C to bf16
v_cmp_u_f32 s[54:55], v[vgprValuC+83], v[vgprValuC+83] // check Nan
v_bfe_u32 v6, v[vgprValuC+83], 16, 1               // Non-Nan case: store lsb of bf16
v_add3_u32 v6, v[vgprValuC+83], v6, v9             // Non-Nan case: add lsb and the increment for rounding
v_cndmask_b32 v[vgprValuC+83], v6, v8, s[54:55]    // 
v_and_or_b32 v81, v[vgprValuC+83], v7, v[vgprValuC+82] // pack two bf16 to dword
	;; [unrolled: 31-line block ×5, first 2 shown]
_buffer_store_b64 v[96:97], v10, s[sgprSrdD:sgprSrdD+3], 0, offen, offset:72 // store D

s_waitcnt vmcnt(15)                                // wait C (interleaved) 15 = 16 - 14 + 14 - 1
v_lshlrev_b32 v4, 16, v100                         // convert bf16 to fp32
_v_mac_f32 v[vgprValuC+104], v4, s[sgprBeta]       // finalSum = sum*alpha + C*beta
v_and_b32 v4, v100, v7                             // convert bf16 to fp32
_v_mac_f32 v[vgprValuC+105], v4, s[sgprBeta]       // finalSum = sum*alpha + C*beta
v_lshlrev_b32 v4, 16, v101                         // convert bf16 to fp32
_v_mac_f32 v[vgprValuC+106], v4, s[sgprBeta]       // finalSum = sum*alpha + C*beta
v_and_b32 v4, v101, v7                             // convert bf16 to fp32
_v_mac_f32 v[vgprValuC+107], v4, s[sgprBeta]       // finalSum = sum*alpha + C*beta
v_cmp_u_f32 s[54:55], v[vgprValuC+104], v[vgprValuC+104] // check Nan
v_bfe_u32 v6, v[vgprValuC+104], 16, 1              // Non-Nan case: store lsb of bf16
v_add3_u32 v6, v[vgprValuC+104], v6, v9            // Non-Nan case: add lsb and the increment for rounding
v_cndmask_b32 v[vgprValuC+104], v6, v8, s[54:55]   // 
v_lshrrev_b32 v[vgprValuC+104], 16, v[vgprValuC+104] // convert C to bf16
v_cmp_u_f32 s[54:55], v[vgprValuC+105], v[vgprValuC+105] // check Nan
v_bfe_u32 v6, v[vgprValuC+105], 16, 1              // Non-Nan case: store lsb of bf16
v_add3_u32 v6, v[vgprValuC+105], v6, v9            // Non-Nan case: add lsb and the increment for rounding
v_cndmask_b32 v[vgprValuC+105], v6, v8, s[54:55]   // 
v_and_or_b32 v104, v[vgprValuC+105], v7, v[vgprValuC+104] // pack two bf16 to dword
v_cmp_u_f32 s[54:55], v[vgprValuC+106], v[vgprValuC+106] // check Nan
v_bfe_u32 v6, v[vgprValuC+106], 16, 1              // Non-Nan case: store lsb of bf16
v_add3_u32 v6, v[vgprValuC+106], v6, v9            // Non-Nan case: add lsb and the increment for rounding
v_cndmask_b32 v[vgprValuC+106], v6, v8, s[54:55]   // 
v_lshrrev_b32 v[vgprValuC+106], 16, v[vgprValuC+106] // convert C to bf16
v_cmp_u_f32 s[54:55], v[vgprValuC+107], v[vgprValuC+107] // check Nan
v_bfe_u32 v6, v[vgprValuC+107], 16, 1              // Non-Nan case: store lsb of bf16
v_add3_u32 v6, v[vgprValuC+107], v6, v9            // Non-Nan case: add lsb and the increment for rounding
v_cndmask_b32 v[vgprValuC+107], v6, v8, s[54:55]   // 
v_and_or_b32 v105, v[vgprValuC+107], v7, v[vgprValuC+106] // pack two bf16 to dword
_buffer_store_b64 v[104:105], v10, s[sgprSrdD:sgprSrdD+3], 0, offen, offset:96 // store D

s_waitcnt vmcnt(15)                                // wait C (interleaved) 15 = 16 - 15 + 15 - 1
v_lshlrev_b32 v4, 16, v102                         // convert bf16 to fp32
_v_mac_f32 v[vgprValuC+108], v4, s[sgprBeta]       // finalSum = sum*alpha + C*beta
v_and_b32 v4, v102, v7                             // convert bf16 to fp32
_v_mac_f32 v[vgprValuC+109], v4, s[sgprBeta]       // finalSum = sum*alpha + C*beta
v_lshlrev_b32 v4, 16, v103                         // convert bf16 to fp32
_v_mac_f32 v[vgprValuC+110], v4, s[sgprBeta]       // finalSum = sum*alpha + C*beta
v_and_b32 v4, v103, v7                             // convert bf16 to fp32
_v_mac_f32 v[vgprValuC+111], v4, s[sgprBeta]       // finalSum = sum*alpha + C*beta
v_cmp_u_f32 s[54:55], v[vgprValuC+108], v[vgprValuC+108] // check Nan
v_bfe_u32 v6, v[vgprValuC+108], 16, 1              // Non-Nan case: store lsb of bf16
v_add3_u32 v6, v[vgprValuC+108], v6, v9            // Non-Nan case: add lsb and the increment for rounding
v_cndmask_b32 v[vgprValuC+108], v6, v8, s[54:55]   // 
v_lshrrev_b32 v[vgprValuC+108], 16, v[vgprValuC+108] // convert C to bf16
v_cmp_u_f32 s[54:55], v[vgprValuC+109], v[vgprValuC+109] // check Nan
v_bfe_u32 v6, v[vgprValuC+109], 16, 1              // Non-Nan case: store lsb of bf16
v_add3_u32 v6, v[vgprValuC+109], v6, v9            // Non-Nan case: add lsb and the increment for rounding
v_cndmask_b32 v[vgprValuC+109], v6, v8, s[54:55]   // 
v_and_or_b32 v108, v[vgprValuC+109], v7, v[vgprValuC+108] // pack two bf16 to dword
v_cmp_u_f32 s[54:55], v[vgprValuC+110], v[vgprValuC+110] // check Nan
v_bfe_u32 v6, v[vgprValuC+110], 16, 1              // Non-Nan case: store lsb of bf16
v_add3_u32 v6, v[vgprValuC+110], v6, v9            // Non-Nan case: add lsb and the increment for rounding
v_cndmask_b32 v[vgprValuC+110], v6, v8, s[54:55]   // 
v_lshrrev_b32 v[vgprValuC+110], 16, v[vgprValuC+110] // convert C to bf16
v_cmp_u_f32 s[54:55], v[vgprValuC+111], v[vgprValuC+111] // check Nan
v_bfe_u32 v6, v[vgprValuC+111], 16, 1              // Non-Nan case: store lsb of bf16
v_add3_u32 v6, v[vgprValuC+111], v6, v9            // Non-Nan case: add lsb and the increment for rounding
v_cndmask_b32 v[vgprValuC+111], v6, v8, s[54:55]   // 
v_and_or_b32 v109, v[vgprValuC+111], v7, v[vgprValuC+110] // pack two bf16 to dword
_buffer_store_b64 v[108:109], v10, s[sgprSrdD:sgprSrdD+3], 0, offen, offset:104 // store D
s_nop 0                                            // 1 wait state required when next inst writes vgprs held by previous dwordx4 store inst
s_branch label_GW_End_42                           // jump to end
GW_B1_E1_41:

/* edge=1, allocate 6 sgpr. perBatchTmpS=4 perBatchMaskS=2 perElementMaskS=0 elementsPerBatch=80 */
/* optSingleColVgpr=0 optSharedColVgpr=0 optSGPRUsage=BufferLoad_Edge_Mask optSrdIncForRow=0 */

/******************************************/
/* Global Write Alpha Beta Edge Batch #0 (d1,d0,vc1,vc0) = */
/*    (0,0,0,0:vw1); (0,0,0,1:vw1); (0,0,0,2:vw1); (0,0,0,3:vw1); (0,0,0,4:vw1); (0,0,0,5:vw1); (0,0,0,6:vw1); (0,0,0,7:vw1); (0,1,0,0:vw1); (0,1,0,1:vw1); (0,1,0,2:vw1); (0,1,0,3:vw1); (0,1,0,4:vw1); (0,1,0,5:vw1); (0,1,0,6:vw1); (0,1,0,7:vw1); (0,2,0,0:vw1); (0,2,0,1:vw1); (0,2,0,2:vw1); (0,2,0,3:vw1); (0,2,0,4:vw1); (0,2,0,5:vw1); (0,2,0,6:vw1); (0,2,0,7:vw1); (0,3,0,0:vw1); (0,3,0,1:vw1); (0,3,0,2:vw1); (0,3,0,3:vw1); (0,3,0,4:vw1); (0,3,0,5:vw1); (0,3,0,6:vw1); (0,3,0,7:vw1); (0,0,1,0:vw1); (0,0,1,1:vw1); (0,0,1,2:vw1); (0,0,1,3:vw1); (0,0,1,4:vw1); (0,0,1,5:vw1); (0,0,1,6:vw1); (0,0,1,7:vw1); (0,1,1,0:vw1); (0,1,1,1:vw1); (0,1,1,2:vw1); (0,1,1,3:vw1); (0,1,1,4:vw1); (0,1,1,5:vw1); (0,1,1,6:vw1); (0,1,1,7:vw1); (0,2,1,0:vw1); (0,2,1,1:vw1); (0,2,1,2:vw1); (0,2,1,3:vw1); (0,2,1,4:vw1); (0,2,1,5:vw1); (0,2,1,6:vw1); (0,2,1,7:vw1); (0,3,1,0:vw1); (0,3,1,1:vw1); (0,3,1,2:vw1); (0,3,1,3:vw1); (0,3,1,4:vw1); (0,3,1,5:vw1); (0,3,1,6:vw1); (0,3,1,7:vw1) */
/******************************************/

/* calc coords, apply mask, and issue loads (if necessary) */
/* (d1,vc1,d0,vc0)=(0,0,0,0) */
v_cmp_lt_u32 s[54:55], v0, s[sgprSizeI]            // coord0 < size0
v_cmp_lt_u32 s[58:59], v1, s[sgprSizeJ]            // coord1 < size1
s_and_b64 s[58:59], s[54:55], s[58:59]             // in0 && in1
_v_add_lshl_u32 v10, v2, v0, 0x1                   // scaleToBpe: accumulate d0 lower and *= bpe into Cin addr
v_cndmask_b32 v10, -1, v10, s[58:59]               // LDC clip if OOB. offset
_buffer_load_d16_b16 v11, v10, s[sgprSrdC:sgprSrdC+3], 0, offen offset:0 // load C for beta calc
_v_add_lshl_u32 v10, v3, v0, 0x1                   // scaleToBpe: accumulate d0 lower and *= bpe into Cin addr
v_cndmask_b32 v10, -1, v10, s[58:59]               // LDD clip if OOB. offset
/* (d1,vc1,d0,vc0)=(0,0,0,1) */
_v_add_co_u32 v4, vcc, v0, 1                       // coord0.1: coord0 += d0*sg0*VW + vc0
v_cmp_lt_u32 s[54:55], v4, s[sgprSizeI]            // coord0 < size0
v_cmp_lt_u32 s[58:59], v1, s[sgprSizeJ]            // coord1 < size1
s_and_b64 s[58:59], s[54:55], s[58:59]             // in0 && in1
_v_add_lshl_u32 v13, v2, v4, 0x1                   // scaleToBpe: accumulate d0 lower and *= bpe into Cin addr
v_cndmask_b32 v13, -1, v13, s[58:59]               // LDC clip if OOB. offset
_buffer_load_d16_b16 v14, v13, s[sgprSrdC:sgprSrdC+3], 0, offen offset:0 // load C for beta calc
_v_add_lshl_u32 v13, v3, v4, 0x1                   // scaleToBpe: accumulate d0 lower and *= bpe into Cin addr
v_cndmask_b32 v13, -1, v13, s[58:59]               // LDD clip if OOB. offset
/* (d1,vc1,d0,vc0)=(0,0,0,2) */
_v_add_co_u32 v4, vcc, v0, 2                       // coord0.1: coord0 += d0*sg0*VW + vc0
	;; [unrolled: 10-line block ×7, first 2 shown]
v_cmp_lt_u32 s[54:55], v4, s[sgprSizeI]            // coord0 < size0
v_cmp_lt_u32 s[58:59], v1, s[sgprSizeJ]            // coord1 < size1
s_and_b64 s[58:59], s[54:55], s[58:59]             // in0 && in1
_v_add_lshl_u32 v34, v2, v4, 0x1                   // scaleToBpe: accumulate d0 lower and *= bpe into Cin addr
v_cndmask_b32 v34, -1, v34, s[58:59]               // LDC clip if OOB. offset
_buffer_load_d16_b16 v35, v34, s[sgprSrdC:sgprSrdC+3], 0, offen offset:0 // load C for beta calc
_v_add_lshl_u32 v34, v3, v4, 0x1                   // scaleToBpe: accumulate d0 lower and *= bpe into Cin addr
v_cndmask_b32 v34, -1, v34, s[58:59]               // LDD clip if OOB. offset
/* (d1,vc1,d0,vc0)=(0,0,1,0) */
_v_add_co_u32 v4, vcc, v0, 16                      // coord0.1: coord0 += d0*sg0*VW + vc0
v_cmp_lt_u32 s[54:55], v4, s[sgprSizeI]            // coord0 < size0
v_cmp_lt_u32 s[58:59], v1, s[sgprSizeJ]            // coord1 < size1
s_and_b64 s[58:59], s[54:55], s[58:59]             // in0 && in1
_v_add_lshl_u32 v37, v2, v4, 0x1                   // scaleToBpe: accumulate d0 lower and *= bpe into Cin addr
v_cndmask_b32 v37, -1, v37, s[58:59]               // LDC clip if OOB. offset
_buffer_load_d16_b16 v38, v37, s[sgprSrdC:sgprSrdC+3], 0, offen offset:0 // load C for beta calc
_v_add_lshl_u32 v37, v3, v4, 0x1                   // scaleToBpe: accumulate d0 lower and *= bpe into Cin addr
v_cndmask_b32 v37, -1, v37, s[58:59]               // LDD clip if OOB. offset
/* (d1,vc1,d0,vc0)=(0,0,1,1) */
_v_add_co_u32 v4, vcc, v0, 17                      // coord0.1: coord0 += d0*sg0*VW + vc0
	;; [unrolled: 10-line block ×22, first 2 shown]
v_cmp_lt_u32 s[54:55], v4, s[sgprSizeI]            // coord0 < size0
v_cmp_lt_u32 s[58:59], v1, s[sgprSizeJ]            // coord1 < size1
s_and_b64 s[58:59], s[54:55], s[58:59]             // in0 && in1
_v_add_lshl_u32 v100, v2, v4, 0x1                  // scaleToBpe: accumulate d0 lower and *= bpe into Cin addr
v_cndmask_b32 v100, -1, v100, s[58:59]             // LDC clip if OOB. offset
_buffer_load_d16_b16 v101, v100, s[sgprSrdC:sgprSrdC+3], 0, offen offset:0 // load C for beta calc
_v_add_lshl_u32 v100, v3, v4, 0x1                  // scaleToBpe: accumulate d0 lower and *= bpe into Cin addr
v_cndmask_b32 v100, -1, v100, s[58:59]             // LDD clip if OOB. offset
/* (d1,vc1,d0,vc0)=(0,0,3,6) */
_v_add_co_u32 v4, vcc, v0, 54                      // coord0.1: coord0 += d0*sg0*VW + vc0
v_cmp_lt_u32 s[54:55], v4, s[sgprSizeI]            // coord0 < size0
v_cmp_lt_u32 s[58:59], v1, s[sgprSizeJ]            // coord1 < size1
s_and_b64 s[58:59], s[54:55], s[58:59]             // in0 && in1
_v_add_lshl_u32 v103, v2, v4, 0x1                  // scaleToBpe: accumulate d0 lower and *= bpe into Cin addr
v_cndmask_b32 v103, -1, v103, s[58:59]             // LDC clip if OOB. offset
_buffer_load_d16_b16 v104, v103, s[sgprSrdC:sgprSrdC+3], 0, offen offset:0 // load C for beta calc
_v_add_lshl_u32 v103, v3, v4, 0x1                  // scaleToBpe: accumulate d0 lower and *= bpe into Cin addr
v_cndmask_b32 v103, -1, v103, s[58:59]             // LDD clip if OOB. offset
/* (d1,vc1,d0,vc0)=(0,0,3,7) */
_v_add_co_u32 v4, vcc, v0, 55                      // coord0.1: coord0 += d0*sg0*VW + vc0
v_cmp_lt_u32 s[54:55], v4, s[sgprSizeI]            // coord0 < size0
v_cmp_lt_u32 s[58:59], v1, s[sgprSizeJ]            // coord1 < size1
s_and_b64 s[58:59], s[54:55], s[58:59]             // in0 && in1
_v_add_lshl_u32 v106, v2, v4, 0x1                  // scaleToBpe: accumulate d0 lower and *= bpe into Cin addr
v_cndmask_b32 v106, -1, v106, s[58:59]             // LDC clip if OOB. offset
_buffer_load_d16_b16 v107, v106, s[sgprSrdC:sgprSrdC+3], 0, offen offset:0 // load C for beta calc
_v_add_lshl_u32 v106, v3, v4, 0x1                  // scaleToBpe: accumulate d0 lower and *= bpe into Cin addr
v_cndmask_b32 v106, -1, v106, s[58:59]             // LDD clip if OOB. offset
/* (d1,vc1,d0,vc0)=(0,1,0,0) */
_v_add_co_u32 v1, vcc, v1, 1                       // coord1.1: coord1Vgpr += d1*sg1*VW + vc1

/* Fix for UseInitialStridesCD, emitAddressSetupCode */
_v_add_u32 v2, v2, s[sgprStrideC1J]                // ROWINC- Move cinRowPtr to next row
_v_add_u32 v3, v3, s[sgprStrideD1J]                // Move coutRowPtr to next row
v_cmp_lt_u32 s[54:55], v0, s[sgprSizeI]            // coord0 < size0
v_cmp_lt_u32 s[58:59], v1, s[sgprSizeJ]            // coord1 < size1
s_and_b64 s[58:59], s[54:55], s[58:59]             // in0 && in1
_v_add_lshl_u32 v109, v2, v0, 0x1                  // scaleToBpe: accumulate d0 lower and *= bpe into Cin addr
v_cndmask_b32 v109, -1, v109, s[58:59]             // LDC clip if OOB. offset
_buffer_load_d16_b16 v110, v109, s[sgprSrdC:sgprSrdC+3], 0, offen offset:0 // load C for beta calc
_v_add_lshl_u32 v109, v3, v0, 0x1                  // scaleToBpe: accumulate d0 lower and *= bpe into Cin addr
v_cndmask_b32 v109, -1, v109, s[58:59]             // LDD clip if OOB. offset
/* (d1,vc1,d0,vc0)=(0,1,0,1) */
_v_add_co_u32 v4, vcc, v0, 1                       // coord0.1: coord0 += d0*sg0*VW + vc0
v_cmp_lt_u32 s[54:55], v4, s[sgprSizeI]            // coord0 < size0
v_cmp_lt_u32 s[58:59], v1, s[sgprSizeJ]            // coord1 < size1
s_and_b64 s[58:59], s[54:55], s[58:59]             // in0 && in1
_v_add_lshl_u32 v112, v2, v4, 0x1                  // scaleToBpe: accumulate d0 lower and *= bpe into Cin addr
v_cndmask_b32 v112, -1, v112, s[58:59]             // LDC clip if OOB. offset
_buffer_load_d16_b16 v113, v112, s[sgprSrdC:sgprSrdC+3], 0, offen offset:0 // load C for beta calc
_v_add_lshl_u32 v112, v3, v4, 0x1                  // scaleToBpe: accumulate d0 lower and *= bpe into Cin addr
v_cndmask_b32 v112, -1, v112, s[58:59]             // LDD clip if OOB. offset
/* (d1,vc1,d0,vc0)=(0,1,0,2) */
_v_add_co_u32 v4, vcc, v0, 2                       // coord0.1: coord0 += d0*sg0*VW + vc0
	;; [unrolled: 10-line block ×7, first 2 shown]
v_cmp_lt_u32 s[54:55], v4, s[sgprSizeI]            // coord0 < size0
v_cmp_lt_u32 s[58:59], v1, s[sgprSizeJ]            // coord1 < size1
s_and_b64 s[58:59], s[54:55], s[58:59]             // in0 && in1
_v_add_lshl_u32 v130, v2, v4, 0x1                  // scaleToBpe: accumulate d0 lower and *= bpe into Cin addr
v_cndmask_b32 v130, -1, v130, s[58:59]             // LDC clip if OOB. offset
_buffer_load_d16_b16 v131, v130, s[sgprSrdC:sgprSrdC+3], 0, offen offset:0 // load C for beta calc
_v_add_lshl_u32 v130, v3, v4, 0x1                  // scaleToBpe: accumulate d0 lower and *= bpe into Cin addr
v_cndmask_b32 v130, -1, v130, s[58:59]             // LDD clip if OOB. offset
/* (d1,vc1,d0,vc0)=(0,1,1,0) */
_v_add_co_u32 v4, vcc, v0, 16                      // coord0.1: coord0 += d0*sg0*VW + vc0
v_cmp_lt_u32 s[54:55], v4, s[sgprSizeI]            // coord0 < size0
v_cmp_lt_u32 s[58:59], v1, s[sgprSizeJ]            // coord1 < size1
s_and_b64 s[58:59], s[54:55], s[58:59]             // in0 && in1
_v_add_lshl_u32 v133, v2, v4, 0x1                  // scaleToBpe: accumulate d0 lower and *= bpe into Cin addr
v_cndmask_b32 v133, -1, v133, s[58:59]             // LDC clip if OOB. offset
_buffer_load_d16_b16 v134, v133, s[sgprSrdC:sgprSrdC+3], 0, offen offset:0 // load C for beta calc
_v_add_lshl_u32 v133, v3, v4, 0x1                  // scaleToBpe: accumulate d0 lower and *= bpe into Cin addr
v_cndmask_b32 v133, -1, v133, s[58:59]             // LDD clip if OOB. offset
/* (d1,vc1,d0,vc0)=(0,1,1,1) */
_v_add_co_u32 v4, vcc, v0, 17                      // coord0.1: coord0 += d0*sg0*VW + vc0
	;; [unrolled: 10-line block ×24, first 2 shown]
v_cmp_lt_u32 s[54:55], v4, s[sgprSizeI]            // coord0 < size0
v_cmp_lt_u32 s[58:59], v1, s[sgprSizeJ]            // coord1 < size1
s_and_b64 s[58:59], s[54:55], s[58:59]             // in0 && in1
_v_add_lshl_u32 v202, v2, v4, 0x1                  // scaleToBpe: accumulate d0 lower and *= bpe into Cin addr
v_cndmask_b32 v202, -1, v202, s[58:59]             // LDC clip if OOB. offset
_buffer_load_d16_b16 v203, v202, s[sgprSrdC:sgprSrdC+3], 0, offen offset:0 // load C for beta calc
_v_add_lshl_u32 v202, v3, v4, 0x1                  // scaleToBpe: accumulate d0 lower and *= bpe into Cin addr
v_cndmask_b32 v202, -1, v202, s[58:59]             // LDD clip if OOB. offset
v_accvgpr_read_b32 v[vgprValuC+12], acc0 // copy acc to vreg[0]
v_accvgpr_read_b32 v[vgprValuC+15], acc16 // copy acc to vreg[1]
v_accvgpr_read_b32 v[vgprValuC+18], acc1 // copy acc to vreg[2]
v_accvgpr_read_b32 v[vgprValuC+21], acc17 // copy acc to vreg[3]
v_accvgpr_read_b32 v[vgprValuC+24], acc2 // copy acc to vreg[4]
v_accvgpr_read_b32 v[vgprValuC+27], acc18 // copy acc to vreg[5]
v_accvgpr_read_b32 v[vgprValuC+33], acc3 // copy acc to vreg[6]
v_accvgpr_read_b32 v[vgprValuC+36], acc19 // copy acc to vreg[7]
v_accvgpr_read_b32 v[vgprValuC+39], acc4 // copy acc to vreg[8]
v_accvgpr_read_b32 v[vgprValuC+42], acc20 // copy acc to vreg[9]
v_accvgpr_read_b32 v[vgprValuC+45], acc5 // copy acc to vreg[10]
v_accvgpr_read_b32 v[vgprValuC+48], acc21 // copy acc to vreg[11]
v_accvgpr_read_b32 v[vgprValuC+51], acc6 // copy acc to vreg[12]
v_accvgpr_read_b32 v[vgprValuC+54], acc22 // copy acc to vreg[13]
v_accvgpr_read_b32 v[vgprValuC+57], acc7 // copy acc to vreg[14]
v_accvgpr_read_b32 v[vgprValuC+60], acc23 // copy acc to vreg[15]
v_accvgpr_read_b32 v[vgprValuC+63], acc8 // copy acc to vreg[16]
v_accvgpr_read_b32 v[vgprValuC+66], acc24 // copy acc to vreg[17]
v_accvgpr_read_b32 v[vgprValuC+69], acc9 // copy acc to vreg[18]
v_accvgpr_read_b32 v[vgprValuC+72], acc25 // copy acc to vreg[19]
v_accvgpr_read_b32 v[vgprValuC+75], acc10 // copy acc to vreg[20]
v_accvgpr_read_b32 v[vgprValuC+78], acc26 // copy acc to vreg[21]
v_accvgpr_read_b32 v[vgprValuC+81], acc11 // copy acc to vreg[22]
v_accvgpr_read_b32 v[vgprValuC+84], acc27 // copy acc to vreg[23]
v_accvgpr_read_b32 v[vgprValuC+87], acc12 // copy acc to vreg[24]
v_accvgpr_read_b32 v[vgprValuC+90], acc28 // copy acc to vreg[25]
v_accvgpr_read_b32 v[vgprValuC+93], acc13 // copy acc to vreg[26]
v_accvgpr_read_b32 v[vgprValuC+96], acc29 // copy acc to vreg[27]
v_accvgpr_read_b32 v[vgprValuC+99], acc14 // copy acc to vreg[28]
v_accvgpr_read_b32 v[vgprValuC+102], acc30 // copy acc to vreg[29]
v_accvgpr_read_b32 v[vgprValuC+105], acc15 // copy acc to vreg[30]
v_accvgpr_read_b32 v[vgprValuC+108], acc31 // copy acc to vreg[31]
v_accvgpr_read_b32 v[vgprValuC+111], acc32 // copy acc to vreg[32]
v_accvgpr_read_b32 v[vgprValuC+114], acc48 // copy acc to vreg[33]
v_accvgpr_read_b32 v[vgprValuC+117], acc33 // copy acc to vreg[34]
v_accvgpr_read_b32 v[vgprValuC+120], acc49 // copy acc to vreg[35]
v_accvgpr_read_b32 v[vgprValuC+123], acc34 // copy acc to vreg[36]
v_accvgpr_read_b32 v[vgprValuC+126], acc50 // copy acc to vreg[37]
v_accvgpr_read_b32 v[vgprValuC+129], acc35 // copy acc to vreg[38]
v_accvgpr_read_b32 v[vgprValuC+132], acc51 // copy acc to vreg[39]
v_accvgpr_read_b32 v[vgprValuC+135], acc36 // copy acc to vreg[40]
v_accvgpr_read_b32 v[vgprValuC+138], acc52 // copy acc to vreg[41]
v_accvgpr_read_b32 v[vgprValuC+141], acc37 // copy acc to vreg[42]
v_accvgpr_read_b32 v[vgprValuC+144], acc53 // copy acc to vreg[43]
v_accvgpr_read_b32 v[vgprValuC+147], acc38 // copy acc to vreg[44]
v_accvgpr_read_b32 v[vgprValuC+150], acc54 // copy acc to vreg[45]
v_accvgpr_read_b32 v[vgprValuC+153], acc39 // copy acc to vreg[46]
v_accvgpr_read_b32 v[vgprValuC+156], acc55 // copy acc to vreg[47]
v_accvgpr_read_b32 v[vgprValuC+159], acc40 // copy acc to vreg[48]
v_accvgpr_read_b32 v[vgprValuC+162], acc56 // copy acc to vreg[49]
v_accvgpr_read_b32 v[vgprValuC+165], acc41 // copy acc to vreg[50]
v_accvgpr_read_b32 v[vgprValuC+168], acc57 // copy acc to vreg[51]
v_accvgpr_read_b32 v[vgprValuC+171], acc42 // copy acc to vreg[52]
v_accvgpr_read_b32 v[vgprValuC+174], acc58 // copy acc to vreg[53]
v_accvgpr_read_b32 v[vgprValuC+177], acc43 // copy acc to vreg[54]
v_accvgpr_read_b32 v[vgprValuC+180], acc59 // copy acc to vreg[55]
v_accvgpr_read_b32 v[vgprValuC+183], acc44 // copy acc to vreg[56]
v_accvgpr_read_b32 v[vgprValuC+186], acc60 // copy acc to vreg[57]
v_accvgpr_read_b32 v[vgprValuC+189], acc45 // copy acc to vreg[58]
v_accvgpr_read_b32 v[vgprValuC+192], acc61 // copy acc to vreg[59]
v_accvgpr_read_b32 v[vgprValuC+195], acc46 // copy acc to vreg[60]
v_accvgpr_read_b32 v[vgprValuC+198], acc62 // copy acc to vreg[61]
v_accvgpr_read_b32 v[vgprValuC+201], acc47 // copy acc to vreg[62]
v_accvgpr_read_b32 v[vgprValuC+204], acc63 // copy acc to vreg[63]
s_nop 1                                            // 2 wait states required before reading vgpr

/* rC *= alpha batchElements=[(0, 0, 0, 0), (0, 0, 0, 1), (0, 0, 0, 2), (0, 0, 0, 3), (0, 0, 0, 4), (0, 0, 0, 5), (0, 0, 0, 6), (0, 0, 0, 7), (0, 1, 0, 0), (0, 1, 0, 1), (0, 1, 0, 2), (0, 1, 0, 3), (0, 1, 0, 4), (0, 1, 0, 5), (0, 1, 0, 6), (0, 1, 0, 7), (0, 2, 0, 0), (0, 2, 0, 1), (0, 2, 0, 2), (0, 2, 0, 3), (0, 2, 0, 4), (0, 2, 0, 5), (0, 2, 0, 6), (0, 2, 0, 7), (0, 3, 0, 0), (0, 3, 0, 1), (0, 3, 0, 2), (0, 3, 0, 3), (0, 3, 0, 4), (0, 3, 0, 5), (0, 3, 0, 6), (0, 3, 0, 7), (0, 0, 1, 0), (0, 0, 1, 1), (0, 0, 1, 2), (0, 0, 1, 3), (0, 0, 1, 4), (0, 0, 1, 5), (0, 0, 1, 6), (0, 0, 1, 7), (0, 1, 1, 0), (0, 1, 1, 1), (0, 1, 1, 2), (0, 1, 1, 3), (0, 1, 1, 4), (0, 1, 1, 5), (0, 1, 1, 6), (0, 1, 1, 7), (0, 2, 1, 0), (0, 2, 1, 1), (0, 2, 1, 2), (0, 2, 1, 3), (0, 2, 1, 4), (0, 2, 1, 5), (0, 2, 1, 6), (0, 2, 1, 7), (0, 3, 1, 0), (0, 3, 1, 1), (0, 3, 1, 2), (0, 3, 1, 3), (0, 3, 1, 4), (0, 3, 1, 5), (0, 3, 1, 6), (0, 3, 1, 7)] */
v_mul_f32 v[vgprValuC+12], s[sgprAlpha], v[vgprValuC+12] // *= alpha
v_mul_f32 v[vgprValuC+15], s[sgprAlpha], v[vgprValuC+15] // *= alpha
	;; [unrolled: 1-line block ×64, first 2 shown]
s_waitcnt vmcnt(0)                                 // wait C

/* apply mask, calc new C and issue writes */
v_mov_b32 v7, 0xffff0000                           // mask for pack two bfloat16 element to 32bit
v_mov_b32 v8, 0x7fff0000                           // fp32 Nan
v_mov_b32 v9, 0x7fff                               // rounding bias for bfloat16
v_lshlrev_b32 v4, 16, v11                          // convert bf16 to fp32
_v_mac_f32 v[vgprValuC+12], v4, s[sgprBeta]        // finalSum = sum*alpha + C*beta
v_cmp_u_f32 s[54:55], v[vgprValuC+12], v[vgprValuC+12] // check Nan
v_bfe_u32 v6, v[vgprValuC+12], 16, 1               // Non-Nan case: store lsb of bf16
v_add3_u32 v6, v[vgprValuC+12], v6, v9             // Non-Nan case: add lsb and the increment for rounding
v_cndmask_b32 v[vgprValuC+12], v6, v8, s[54:55]    // 
v_lshrrev_b32 v[vgprValuC+12], 16, v[vgprValuC+12] // convert C to bf16
_buffer_store_b16 v12, v10, s[sgprSrdD:sgprSrdD+3], 0, offen, offset:0 // store D
v_lshlrev_b32 v4, 16, v14                          // convert bf16 to fp32
_v_mac_f32 v[vgprValuC+15], v4, s[sgprBeta]        // finalSum = sum*alpha + C*beta
v_cmp_u_f32 s[54:55], v[vgprValuC+15], v[vgprValuC+15] // check Nan
v_bfe_u32 v6, v[vgprValuC+15], 16, 1               // Non-Nan case: store lsb of bf16
v_add3_u32 v6, v[vgprValuC+15], v6, v9             // Non-Nan case: add lsb and the increment for rounding
v_cndmask_b32 v[vgprValuC+15], v6, v8, s[54:55]    // 
v_lshrrev_b32 v[vgprValuC+15], 16, v[vgprValuC+15] // convert C to bf16
_buffer_store_b16 v15, v13, s[sgprSrdD:sgprSrdD+3], 0, offen, offset:0 // store D
	;; [unrolled: 8-line block ×29, first 2 shown]
v_lshlrev_b32 v4, 16, v101                         // convert bf16 to fp32
_v_mac_f32 v[vgprValuC+102], v4, s[sgprBeta]       // finalSum = sum*alpha + C*beta
v_cmp_u_f32 s[54:55], v[vgprValuC+102], v[vgprValuC+102] // check Nan
v_bfe_u32 v6, v[vgprValuC+102], 16, 1              // Non-Nan case: store lsb of bf16
v_add3_u32 v6, v[vgprValuC+102], v6, v9            // Non-Nan case: add lsb and the increment for rounding
v_cndmask_b32 v[vgprValuC+102], v6, v8, s[54:55]   // 
v_lshrrev_b32 v[vgprValuC+102], 16, v[vgprValuC+102] // convert C to bf16
_buffer_store_b16 v102, v100, s[sgprSrdD:sgprSrdD+3], 0, offen, offset:0 // store D
v_lshlrev_b32 v4, 16, v104                         // convert bf16 to fp32
_v_mac_f32 v[vgprValuC+105], v4, s[sgprBeta]       // finalSum = sum*alpha + C*beta
v_cmp_u_f32 s[54:55], v[vgprValuC+105], v[vgprValuC+105] // check Nan
v_bfe_u32 v6, v[vgprValuC+105], 16, 1              // Non-Nan case: store lsb of bf16
v_add3_u32 v6, v[vgprValuC+105], v6, v9            // Non-Nan case: add lsb and the increment for rounding
v_cndmask_b32 v[vgprValuC+105], v6, v8, s[54:55]   // 
v_lshrrev_b32 v[vgprValuC+105], 16, v[vgprValuC+105] // convert C to bf16
_buffer_store_b16 v105, v103, s[sgprSrdD:sgprSrdD+3], 0, offen, offset:0 // store D
v_lshlrev_b32 v4, 16, v107                         // convert bf16 to fp32
_v_mac_f32 v[vgprValuC+108], v4, s[sgprBeta]       // finalSum = sum*alpha + C*beta
v_cmp_u_f32 s[54:55], v[vgprValuC+108], v[vgprValuC+108] // check Nan
v_bfe_u32 v6, v[vgprValuC+108], 16, 1              // Non-Nan case: store lsb of bf16
v_add3_u32 v6, v[vgprValuC+108], v6, v9            // Non-Nan case: add lsb and the increment for rounding
v_cndmask_b32 v[vgprValuC+108], v6, v8, s[54:55]   // 
v_lshrrev_b32 v[vgprValuC+108], 16, v[vgprValuC+108] // convert C to bf16
_buffer_store_b16 v108, v106, s[sgprSrdD:sgprSrdD+3], 0, offen, offset:0 // store D
v_lshlrev_b32 v4, 16, v110                         // convert bf16 to fp32
_v_mac_f32 v[vgprValuC+111], v4, s[sgprBeta]       // finalSum = sum*alpha + C*beta
v_cmp_u_f32 s[54:55], v[vgprValuC+111], v[vgprValuC+111] // check Nan
v_bfe_u32 v6, v[vgprValuC+111], 16, 1              // Non-Nan case: store lsb of bf16
v_add3_u32 v6, v[vgprValuC+111], v6, v9            // Non-Nan case: add lsb and the increment for rounding
v_cndmask_b32 v[vgprValuC+111], v6, v8, s[54:55]   // 
v_lshrrev_b32 v[vgprValuC+111], 16, v[vgprValuC+111] // convert C to bf16
_buffer_store_b16 v111, v109, s[sgprSrdD:sgprSrdD+3], 0, offen, offset:0 // store D
v_lshlrev_b32 v4, 16, v113                         // convert bf16 to fp32
_v_mac_f32 v[vgprValuC+114], v4, s[sgprBeta]       // finalSum = sum*alpha + C*beta
v_cmp_u_f32 s[54:55], v[vgprValuC+114], v[vgprValuC+114] // check Nan
v_bfe_u32 v6, v[vgprValuC+114], 16, 1              // Non-Nan case: store lsb of bf16
v_add3_u32 v6, v[vgprValuC+114], v6, v9            // Non-Nan case: add lsb and the increment for rounding
v_cndmask_b32 v[vgprValuC+114], v6, v8, s[54:55]   // 
v_lshrrev_b32 v[vgprValuC+114], 16, v[vgprValuC+114] // convert C to bf16
_buffer_store_b16 v114, v112, s[sgprSrdD:sgprSrdD+3], 0, offen, offset:0 // store D
v_lshlrev_b32 v4, 16, v116                         // convert bf16 to fp32
_v_mac_f32 v[vgprValuC+117], v4, s[sgprBeta]       // finalSum = sum*alpha + C*beta
v_cmp_u_f32 s[54:55], v[vgprValuC+117], v[vgprValuC+117] // check Nan
v_bfe_u32 v6, v[vgprValuC+117], 16, 1              // Non-Nan case: store lsb of bf16
v_add3_u32 v6, v[vgprValuC+117], v6, v9            // Non-Nan case: add lsb and the increment for rounding
v_cndmask_b32 v[vgprValuC+117], v6, v8, s[54:55]   // 
v_lshrrev_b32 v[vgprValuC+117], 16, v[vgprValuC+117] // convert C to bf16
_buffer_store_b16 v117, v115, s[sgprSrdD:sgprSrdD+3], 0, offen, offset:0 // store D
v_lshlrev_b32 v4, 16, v119                         // convert bf16 to fp32
_v_mac_f32 v[vgprValuC+120], v4, s[sgprBeta]       // finalSum = sum*alpha + C*beta
v_cmp_u_f32 s[54:55], v[vgprValuC+120], v[vgprValuC+120] // check Nan
v_bfe_u32 v6, v[vgprValuC+120], 16, 1              // Non-Nan case: store lsb of bf16
v_add3_u32 v6, v[vgprValuC+120], v6, v9            // Non-Nan case: add lsb and the increment for rounding
v_cndmask_b32 v[vgprValuC+120], v6, v8, s[54:55]   // 
v_lshrrev_b32 v[vgprValuC+120], 16, v[vgprValuC+120] // convert C to bf16
_buffer_store_b16 v120, v118, s[sgprSrdD:sgprSrdD+3], 0, offen, offset:0 // store D
v_lshlrev_b32 v4, 16, v122                         // convert bf16 to fp32
_v_mac_f32 v[vgprValuC+123], v4, s[sgprBeta]       // finalSum = sum*alpha + C*beta
v_cmp_u_f32 s[54:55], v[vgprValuC+123], v[vgprValuC+123] // check Nan
v_bfe_u32 v6, v[vgprValuC+123], 16, 1              // Non-Nan case: store lsb of bf16
v_add3_u32 v6, v[vgprValuC+123], v6, v9            // Non-Nan case: add lsb and the increment for rounding
v_cndmask_b32 v[vgprValuC+123], v6, v8, s[54:55]   // 
v_lshrrev_b32 v[vgprValuC+123], 16, v[vgprValuC+123] // convert C to bf16
_buffer_store_b16 v123, v121, s[sgprSrdD:sgprSrdD+3], 0, offen, offset:0 // store D
v_lshlrev_b32 v4, 16, v125                         // convert bf16 to fp32
_v_mac_f32 v[vgprValuC+126], v4, s[sgprBeta]       // finalSum = sum*alpha + C*beta
v_cmp_u_f32 s[54:55], v[vgprValuC+126], v[vgprValuC+126] // check Nan
v_bfe_u32 v6, v[vgprValuC+126], 16, 1              // Non-Nan case: store lsb of bf16
v_add3_u32 v6, v[vgprValuC+126], v6, v9            // Non-Nan case: add lsb and the increment for rounding
v_cndmask_b32 v[vgprValuC+126], v6, v8, s[54:55]   // 
v_lshrrev_b32 v[vgprValuC+126], 16, v[vgprValuC+126] // convert C to bf16
_buffer_store_b16 v126, v124, s[sgprSrdD:sgprSrdD+3], 0, offen, offset:0 // store D
v_lshlrev_b32 v4, 16, v128                         // convert bf16 to fp32
_v_mac_f32 v[vgprValuC+129], v4, s[sgprBeta]       // finalSum = sum*alpha + C*beta
v_cmp_u_f32 s[54:55], v[vgprValuC+129], v[vgprValuC+129] // check Nan
v_bfe_u32 v6, v[vgprValuC+129], 16, 1              // Non-Nan case: store lsb of bf16
v_add3_u32 v6, v[vgprValuC+129], v6, v9            // Non-Nan case: add lsb and the increment for rounding
v_cndmask_b32 v[vgprValuC+129], v6, v8, s[54:55]   // 
v_lshrrev_b32 v[vgprValuC+129], 16, v[vgprValuC+129] // convert C to bf16
_buffer_store_b16 v129, v127, s[sgprSrdD:sgprSrdD+3], 0, offen, offset:0 // store D
v_lshlrev_b32 v4, 16, v131                         // convert bf16 to fp32
_v_mac_f32 v[vgprValuC+132], v4, s[sgprBeta]       // finalSum = sum*alpha + C*beta
v_cmp_u_f32 s[54:55], v[vgprValuC+132], v[vgprValuC+132] // check Nan
v_bfe_u32 v6, v[vgprValuC+132], 16, 1              // Non-Nan case: store lsb of bf16
v_add3_u32 v6, v[vgprValuC+132], v6, v9            // Non-Nan case: add lsb and the increment for rounding
v_cndmask_b32 v[vgprValuC+132], v6, v8, s[54:55]   // 
v_lshrrev_b32 v[vgprValuC+132], 16, v[vgprValuC+132] // convert C to bf16
_buffer_store_b16 v132, v130, s[sgprSrdD:sgprSrdD+3], 0, offen, offset:0 // store D
v_lshlrev_b32 v4, 16, v134                         // convert bf16 to fp32
_v_mac_f32 v[vgprValuC+135], v4, s[sgprBeta]       // finalSum = sum*alpha + C*beta
v_cmp_u_f32 s[54:55], v[vgprValuC+135], v[vgprValuC+135] // check Nan
v_bfe_u32 v6, v[vgprValuC+135], 16, 1              // Non-Nan case: store lsb of bf16
v_add3_u32 v6, v[vgprValuC+135], v6, v9            // Non-Nan case: add lsb and the increment for rounding
v_cndmask_b32 v[vgprValuC+135], v6, v8, s[54:55]   // 
v_lshrrev_b32 v[vgprValuC+135], 16, v[vgprValuC+135] // convert C to bf16
_buffer_store_b16 v135, v133, s[sgprSrdD:sgprSrdD+3], 0, offen, offset:0 // store D
v_lshlrev_b32 v4, 16, v137                         // convert bf16 to fp32
_v_mac_f32 v[vgprValuC+138], v4, s[sgprBeta]       // finalSum = sum*alpha + C*beta
v_cmp_u_f32 s[54:55], v[vgprValuC+138], v[vgprValuC+138] // check Nan
v_bfe_u32 v6, v[vgprValuC+138], 16, 1              // Non-Nan case: store lsb of bf16
v_add3_u32 v6, v[vgprValuC+138], v6, v9            // Non-Nan case: add lsb and the increment for rounding
v_cndmask_b32 v[vgprValuC+138], v6, v8, s[54:55]   // 
v_lshrrev_b32 v[vgprValuC+138], 16, v[vgprValuC+138] // convert C to bf16
_buffer_store_b16 v138, v136, s[sgprSrdD:sgprSrdD+3], 0, offen, offset:0 // store D
v_lshlrev_b32 v4, 16, v140                         // convert bf16 to fp32
_v_mac_f32 v[vgprValuC+141], v4, s[sgprBeta]       // finalSum = sum*alpha + C*beta
v_cmp_u_f32 s[54:55], v[vgprValuC+141], v[vgprValuC+141] // check Nan
v_bfe_u32 v6, v[vgprValuC+141], 16, 1              // Non-Nan case: store lsb of bf16
v_add3_u32 v6, v[vgprValuC+141], v6, v9            // Non-Nan case: add lsb and the increment for rounding
v_cndmask_b32 v[vgprValuC+141], v6, v8, s[54:55]   // 
v_lshrrev_b32 v[vgprValuC+141], 16, v[vgprValuC+141] // convert C to bf16
_buffer_store_b16 v141, v139, s[sgprSrdD:sgprSrdD+3], 0, offen, offset:0 // store D
v_lshlrev_b32 v4, 16, v143                         // convert bf16 to fp32
_v_mac_f32 v[vgprValuC+144], v4, s[sgprBeta]       // finalSum = sum*alpha + C*beta
v_cmp_u_f32 s[54:55], v[vgprValuC+144], v[vgprValuC+144] // check Nan
v_bfe_u32 v6, v[vgprValuC+144], 16, 1              // Non-Nan case: store lsb of bf16
v_add3_u32 v6, v[vgprValuC+144], v6, v9            // Non-Nan case: add lsb and the increment for rounding
v_cndmask_b32 v[vgprValuC+144], v6, v8, s[54:55]   // 
v_lshrrev_b32 v[vgprValuC+144], 16, v[vgprValuC+144] // convert C to bf16
_buffer_store_b16 v144, v142, s[sgprSrdD:sgprSrdD+3], 0, offen, offset:0 // store D
v_lshlrev_b32 v4, 16, v146                         // convert bf16 to fp32
_v_mac_f32 v[vgprValuC+147], v4, s[sgprBeta]       // finalSum = sum*alpha + C*beta
v_cmp_u_f32 s[54:55], v[vgprValuC+147], v[vgprValuC+147] // check Nan
v_bfe_u32 v6, v[vgprValuC+147], 16, 1              // Non-Nan case: store lsb of bf16
v_add3_u32 v6, v[vgprValuC+147], v6, v9            // Non-Nan case: add lsb and the increment for rounding
v_cndmask_b32 v[vgprValuC+147], v6, v8, s[54:55]   // 
v_lshrrev_b32 v[vgprValuC+147], 16, v[vgprValuC+147] // convert C to bf16
_buffer_store_b16 v147, v145, s[sgprSrdD:sgprSrdD+3], 0, offen, offset:0 // store D
v_lshlrev_b32 v4, 16, v149                         // convert bf16 to fp32
_v_mac_f32 v[vgprValuC+150], v4, s[sgprBeta]       // finalSum = sum*alpha + C*beta
v_cmp_u_f32 s[54:55], v[vgprValuC+150], v[vgprValuC+150] // check Nan
v_bfe_u32 v6, v[vgprValuC+150], 16, 1              // Non-Nan case: store lsb of bf16
v_add3_u32 v6, v[vgprValuC+150], v6, v9            // Non-Nan case: add lsb and the increment for rounding
v_cndmask_b32 v[vgprValuC+150], v6, v8, s[54:55]   // 
v_lshrrev_b32 v[vgprValuC+150], 16, v[vgprValuC+150] // convert C to bf16
_buffer_store_b16 v150, v148, s[sgprSrdD:sgprSrdD+3], 0, offen, offset:0 // store D
v_lshlrev_b32 v4, 16, v152                         // convert bf16 to fp32
_v_mac_f32 v[vgprValuC+153], v4, s[sgprBeta]       // finalSum = sum*alpha + C*beta
v_cmp_u_f32 s[54:55], v[vgprValuC+153], v[vgprValuC+153] // check Nan
v_bfe_u32 v6, v[vgprValuC+153], 16, 1              // Non-Nan case: store lsb of bf16
v_add3_u32 v6, v[vgprValuC+153], v6, v9            // Non-Nan case: add lsb and the increment for rounding
v_cndmask_b32 v[vgprValuC+153], v6, v8, s[54:55]   // 
v_lshrrev_b32 v[vgprValuC+153], 16, v[vgprValuC+153] // convert C to bf16
_buffer_store_b16 v153, v151, s[sgprSrdD:sgprSrdD+3], 0, offen, offset:0 // store D
v_lshlrev_b32 v4, 16, v155                         // convert bf16 to fp32
_v_mac_f32 v[vgprValuC+156], v4, s[sgprBeta]       // finalSum = sum*alpha + C*beta
v_cmp_u_f32 s[54:55], v[vgprValuC+156], v[vgprValuC+156] // check Nan
v_bfe_u32 v6, v[vgprValuC+156], 16, 1              // Non-Nan case: store lsb of bf16
v_add3_u32 v6, v[vgprValuC+156], v6, v9            // Non-Nan case: add lsb and the increment for rounding
v_cndmask_b32 v[vgprValuC+156], v6, v8, s[54:55]   // 
v_lshrrev_b32 v[vgprValuC+156], 16, v[vgprValuC+156] // convert C to bf16
_buffer_store_b16 v156, v154, s[sgprSrdD:sgprSrdD+3], 0, offen, offset:0 // store D
v_lshlrev_b32 v4, 16, v158                         // convert bf16 to fp32
_v_mac_f32 v[vgprValuC+159], v4, s[sgprBeta]       // finalSum = sum*alpha + C*beta
v_cmp_u_f32 s[54:55], v[vgprValuC+159], v[vgprValuC+159] // check Nan
v_bfe_u32 v6, v[vgprValuC+159], 16, 1              // Non-Nan case: store lsb of bf16
v_add3_u32 v6, v[vgprValuC+159], v6, v9            // Non-Nan case: add lsb and the increment for rounding
v_cndmask_b32 v[vgprValuC+159], v6, v8, s[54:55]   // 
v_lshrrev_b32 v[vgprValuC+159], 16, v[vgprValuC+159] // convert C to bf16
_buffer_store_b16 v159, v157, s[sgprSrdD:sgprSrdD+3], 0, offen, offset:0 // store D
v_lshlrev_b32 v4, 16, v161                         // convert bf16 to fp32
_v_mac_f32 v[vgprValuC+162], v4, s[sgprBeta]       // finalSum = sum*alpha + C*beta
v_cmp_u_f32 s[54:55], v[vgprValuC+162], v[vgprValuC+162] // check Nan
v_bfe_u32 v6, v[vgprValuC+162], 16, 1              // Non-Nan case: store lsb of bf16
v_add3_u32 v6, v[vgprValuC+162], v6, v9            // Non-Nan case: add lsb and the increment for rounding
v_cndmask_b32 v[vgprValuC+162], v6, v8, s[54:55]   // 
v_lshrrev_b32 v[vgprValuC+162], 16, v[vgprValuC+162] // convert C to bf16
_buffer_store_b16 v162, v160, s[sgprSrdD:sgprSrdD+3], 0, offen, offset:0 // store D
v_lshlrev_b32 v4, 16, v164                         // convert bf16 to fp32
_v_mac_f32 v[vgprValuC+165], v4, s[sgprBeta]       // finalSum = sum*alpha + C*beta
v_cmp_u_f32 s[54:55], v[vgprValuC+165], v[vgprValuC+165] // check Nan
v_bfe_u32 v6, v[vgprValuC+165], 16, 1              // Non-Nan case: store lsb of bf16
v_add3_u32 v6, v[vgprValuC+165], v6, v9            // Non-Nan case: add lsb and the increment for rounding
v_cndmask_b32 v[vgprValuC+165], v6, v8, s[54:55]   // 
v_lshrrev_b32 v[vgprValuC+165], 16, v[vgprValuC+165] // convert C to bf16
_buffer_store_b16 v165, v163, s[sgprSrdD:sgprSrdD+3], 0, offen, offset:0 // store D
v_lshlrev_b32 v4, 16, v167                         // convert bf16 to fp32
_v_mac_f32 v[vgprValuC+168], v4, s[sgprBeta]       // finalSum = sum*alpha + C*beta
v_cmp_u_f32 s[54:55], v[vgprValuC+168], v[vgprValuC+168] // check Nan
v_bfe_u32 v6, v[vgprValuC+168], 16, 1              // Non-Nan case: store lsb of bf16
v_add3_u32 v6, v[vgprValuC+168], v6, v9            // Non-Nan case: add lsb and the increment for rounding
v_cndmask_b32 v[vgprValuC+168], v6, v8, s[54:55]   // 
v_lshrrev_b32 v[vgprValuC+168], 16, v[vgprValuC+168] // convert C to bf16
_buffer_store_b16 v168, v166, s[sgprSrdD:sgprSrdD+3], 0, offen, offset:0 // store D
v_lshlrev_b32 v4, 16, v170                         // convert bf16 to fp32
_v_mac_f32 v[vgprValuC+171], v4, s[sgprBeta]       // finalSum = sum*alpha + C*beta
v_cmp_u_f32 s[54:55], v[vgprValuC+171], v[vgprValuC+171] // check Nan
v_bfe_u32 v6, v[vgprValuC+171], 16, 1              // Non-Nan case: store lsb of bf16
v_add3_u32 v6, v[vgprValuC+171], v6, v9            // Non-Nan case: add lsb and the increment for rounding
v_cndmask_b32 v[vgprValuC+171], v6, v8, s[54:55]   // 
v_lshrrev_b32 v[vgprValuC+171], 16, v[vgprValuC+171] // convert C to bf16
_buffer_store_b16 v171, v169, s[sgprSrdD:sgprSrdD+3], 0, offen, offset:0 // store D
v_lshlrev_b32 v4, 16, v173                         // convert bf16 to fp32
_v_mac_f32 v[vgprValuC+174], v4, s[sgprBeta]       // finalSum = sum*alpha + C*beta
v_cmp_u_f32 s[54:55], v[vgprValuC+174], v[vgprValuC+174] // check Nan
v_bfe_u32 v6, v[vgprValuC+174], 16, 1              // Non-Nan case: store lsb of bf16
v_add3_u32 v6, v[vgprValuC+174], v6, v9            // Non-Nan case: add lsb and the increment for rounding
v_cndmask_b32 v[vgprValuC+174], v6, v8, s[54:55]   // 
v_lshrrev_b32 v[vgprValuC+174], 16, v[vgprValuC+174] // convert C to bf16
_buffer_store_b16 v174, v172, s[sgprSrdD:sgprSrdD+3], 0, offen, offset:0 // store D
v_lshlrev_b32 v4, 16, v176                         // convert bf16 to fp32
_v_mac_f32 v[vgprValuC+177], v4, s[sgprBeta]       // finalSum = sum*alpha + C*beta
v_cmp_u_f32 s[54:55], v[vgprValuC+177], v[vgprValuC+177] // check Nan
v_bfe_u32 v6, v[vgprValuC+177], 16, 1              // Non-Nan case: store lsb of bf16
v_add3_u32 v6, v[vgprValuC+177], v6, v9            // Non-Nan case: add lsb and the increment for rounding
v_cndmask_b32 v[vgprValuC+177], v6, v8, s[54:55]   // 
v_lshrrev_b32 v[vgprValuC+177], 16, v[vgprValuC+177] // convert C to bf16
_buffer_store_b16 v177, v175, s[sgprSrdD:sgprSrdD+3], 0, offen, offset:0 // store D
v_lshlrev_b32 v4, 16, v179                         // convert bf16 to fp32
_v_mac_f32 v[vgprValuC+180], v4, s[sgprBeta]       // finalSum = sum*alpha + C*beta
v_cmp_u_f32 s[54:55], v[vgprValuC+180], v[vgprValuC+180] // check Nan
v_bfe_u32 v6, v[vgprValuC+180], 16, 1              // Non-Nan case: store lsb of bf16
v_add3_u32 v6, v[vgprValuC+180], v6, v9            // Non-Nan case: add lsb and the increment for rounding
v_cndmask_b32 v[vgprValuC+180], v6, v8, s[54:55]   // 
v_lshrrev_b32 v[vgprValuC+180], 16, v[vgprValuC+180] // convert C to bf16
_buffer_store_b16 v180, v178, s[sgprSrdD:sgprSrdD+3], 0, offen, offset:0 // store D
v_lshlrev_b32 v4, 16, v182                         // convert bf16 to fp32
_v_mac_f32 v[vgprValuC+183], v4, s[sgprBeta]       // finalSum = sum*alpha + C*beta
v_cmp_u_f32 s[54:55], v[vgprValuC+183], v[vgprValuC+183] // check Nan
v_bfe_u32 v6, v[vgprValuC+183], 16, 1              // Non-Nan case: store lsb of bf16
v_add3_u32 v6, v[vgprValuC+183], v6, v9            // Non-Nan case: add lsb and the increment for rounding
v_cndmask_b32 v[vgprValuC+183], v6, v8, s[54:55]   // 
v_lshrrev_b32 v[vgprValuC+183], 16, v[vgprValuC+183] // convert C to bf16
_buffer_store_b16 v183, v181, s[sgprSrdD:sgprSrdD+3], 0, offen, offset:0 // store D
v_lshlrev_b32 v4, 16, v185                         // convert bf16 to fp32
_v_mac_f32 v[vgprValuC+186], v4, s[sgprBeta]       // finalSum = sum*alpha + C*beta
v_cmp_u_f32 s[54:55], v[vgprValuC+186], v[vgprValuC+186] // check Nan
v_bfe_u32 v6, v[vgprValuC+186], 16, 1              // Non-Nan case: store lsb of bf16
v_add3_u32 v6, v[vgprValuC+186], v6, v9            // Non-Nan case: add lsb and the increment for rounding
v_cndmask_b32 v[vgprValuC+186], v6, v8, s[54:55]   // 
v_lshrrev_b32 v[vgprValuC+186], 16, v[vgprValuC+186] // convert C to bf16
_buffer_store_b16 v186, v184, s[sgprSrdD:sgprSrdD+3], 0, offen, offset:0 // store D
v_lshlrev_b32 v4, 16, v188                         // convert bf16 to fp32
_v_mac_f32 v[vgprValuC+189], v4, s[sgprBeta]       // finalSum = sum*alpha + C*beta
v_cmp_u_f32 s[54:55], v[vgprValuC+189], v[vgprValuC+189] // check Nan
v_bfe_u32 v6, v[vgprValuC+189], 16, 1              // Non-Nan case: store lsb of bf16
v_add3_u32 v6, v[vgprValuC+189], v6, v9            // Non-Nan case: add lsb and the increment for rounding
v_cndmask_b32 v[vgprValuC+189], v6, v8, s[54:55]   // 
v_lshrrev_b32 v[vgprValuC+189], 16, v[vgprValuC+189] // convert C to bf16
_buffer_store_b16 v189, v187, s[sgprSrdD:sgprSrdD+3], 0, offen, offset:0 // store D
v_lshlrev_b32 v4, 16, v191                         // convert bf16 to fp32
_v_mac_f32 v[vgprValuC+192], v4, s[sgprBeta]       // finalSum = sum*alpha + C*beta
v_cmp_u_f32 s[54:55], v[vgprValuC+192], v[vgprValuC+192] // check Nan
v_bfe_u32 v6, v[vgprValuC+192], 16, 1              // Non-Nan case: store lsb of bf16
v_add3_u32 v6, v[vgprValuC+192], v6, v9            // Non-Nan case: add lsb and the increment for rounding
v_cndmask_b32 v[vgprValuC+192], v6, v8, s[54:55]   // 
v_lshrrev_b32 v[vgprValuC+192], 16, v[vgprValuC+192] // convert C to bf16
_buffer_store_b16 v192, v190, s[sgprSrdD:sgprSrdD+3], 0, offen, offset:0 // store D
v_lshlrev_b32 v4, 16, v194                         // convert bf16 to fp32
_v_mac_f32 v[vgprValuC+195], v4, s[sgprBeta]       // finalSum = sum*alpha + C*beta
v_cmp_u_f32 s[54:55], v[vgprValuC+195], v[vgprValuC+195] // check Nan
v_bfe_u32 v6, v[vgprValuC+195], 16, 1              // Non-Nan case: store lsb of bf16
v_add3_u32 v6, v[vgprValuC+195], v6, v9            // Non-Nan case: add lsb and the increment for rounding
v_cndmask_b32 v[vgprValuC+195], v6, v8, s[54:55]   // 
v_lshrrev_b32 v[vgprValuC+195], 16, v[vgprValuC+195] // convert C to bf16
_buffer_store_b16 v195, v193, s[sgprSrdD:sgprSrdD+3], 0, offen, offset:0 // store D
v_lshlrev_b32 v4, 16, v197                         // convert bf16 to fp32
_v_mac_f32 v[vgprValuC+198], v4, s[sgprBeta]       // finalSum = sum*alpha + C*beta
v_cmp_u_f32 s[54:55], v[vgprValuC+198], v[vgprValuC+198] // check Nan
v_bfe_u32 v6, v[vgprValuC+198], 16, 1              // Non-Nan case: store lsb of bf16
v_add3_u32 v6, v[vgprValuC+198], v6, v9            // Non-Nan case: add lsb and the increment for rounding
v_cndmask_b32 v[vgprValuC+198], v6, v8, s[54:55]   // 
v_lshrrev_b32 v[vgprValuC+198], 16, v[vgprValuC+198] // convert C to bf16
_buffer_store_b16 v198, v196, s[sgprSrdD:sgprSrdD+3], 0, offen, offset:0 // store D
v_lshlrev_b32 v4, 16, v200                         // convert bf16 to fp32
_v_mac_f32 v[vgprValuC+201], v4, s[sgprBeta]       // finalSum = sum*alpha + C*beta
v_cmp_u_f32 s[54:55], v[vgprValuC+201], v[vgprValuC+201] // check Nan
v_bfe_u32 v6, v[vgprValuC+201], 16, 1              // Non-Nan case: store lsb of bf16
v_add3_u32 v6, v[vgprValuC+201], v6, v9            // Non-Nan case: add lsb and the increment for rounding
v_cndmask_b32 v[vgprValuC+201], v6, v8, s[54:55]   // 
v_lshrrev_b32 v[vgprValuC+201], 16, v[vgprValuC+201] // convert C to bf16
_buffer_store_b16 v201, v199, s[sgprSrdD:sgprSrdD+3], 0, offen, offset:0 // store D
v_lshlrev_b32 v4, 16, v203                         // convert bf16 to fp32
_v_mac_f32 v[vgprValuC+204], v4, s[sgprBeta]       // finalSum = sum*alpha + C*beta
v_cmp_u_f32 s[54:55], v[vgprValuC+204], v[vgprValuC+204] // check Nan
v_bfe_u32 v6, v[vgprValuC+204], 16, 1              // Non-Nan case: store lsb of bf16
v_add3_u32 v6, v[vgprValuC+204], v6, v9            // Non-Nan case: add lsb and the increment for rounding
v_cndmask_b32 v[vgprValuC+204], v6, v8, s[54:55]   // 
v_lshrrev_b32 v[vgprValuC+204], 16, v[vgprValuC+204] // convert C to bf16
_buffer_store_b16 v204, v202, s[sgprSrdD:sgprSrdD+3], 0, offen, offset:0 // store D
s_nop 0                                            // 1 wait state required when next inst writes vgprs held by previous dwordx4 store inst
s_branch label_GW_End_42                           // jump to end
label_GW_End_42:

label_0047:  /// KernelEnd
s_endpgm                                           // Kernel End

